;; amdgpu-corpus repo=zjin-lcf/HeCBench kind=compiled arch=gfx90a opt=O3
	.text
	.amdgcn_target "amdgcn-amd-amdhsa--gfx90a"
	.amdhsa_code_object_version 6
	.protected	_Z9ccc_loop1PKiS0_PKdS2_S2_S2_PdiiPi ; -- Begin function _Z9ccc_loop1PKiS0_PKdS2_S2_S2_PdiiPi
	.globl	_Z9ccc_loop1PKiS0_PKdS2_S2_S2_PdiiPi
	.p2align	8
	.type	_Z9ccc_loop1PKiS0_PKdS2_S2_S2_PdiiPi,@function
_Z9ccc_loop1PKiS0_PKdS2_S2_S2_PdiiPi:   ; @_Z9ccc_loop1PKiS0_PKdS2_S2_S2_PdiiPi
; %bb.0:
	s_load_dword s0, s[4:5], 0x54
	s_load_dwordx2 s[8:9], s[4:5], 0x38
	v_and_b32_e32 v1, 0x3ff, v0
	v_bfe_u32 v0, v0, 10, 10
	s_waitcnt lgkmcnt(0)
	s_lshr_b32 s1, s0, 16
	s_and_b32 s0, s0, 0xffff
	s_mul_i32 s6, s6, s0
	s_mul_i32 s7, s7, s1
	v_add_u32_e32 v2, s6, v1
	v_add_u32_e32 v0, s7, v0
	v_cmp_gt_i32_e32 vcc, s8, v2
	v_cmp_gt_i32_e64 s[0:1], s9, v0
	s_and_b64 s[0:1], vcc, s[0:1]
	s_and_saveexec_b64 s[2:3], s[0:1]
	s_cbranch_execz .LBB0_2
; %bb.1:
	s_load_dwordx2 s[6:7], s[4:5], 0x10
	s_load_dwordx4 s[0:3], s[4:5], 0x28
	v_mad_u64_u32 v[0:1], s[4:5], v0, s8, v[2:3]
	v_ashrrev_i32_e32 v1, 31, v0
	v_lshlrev_b64 v[0:1], 3, v[0:1]
	s_waitcnt lgkmcnt(0)
	v_mov_b32_e32 v3, s7
	v_add_co_u32_e32 v2, vcc, s6, v0
	v_addc_co_u32_e32 v3, vcc, v3, v1, vcc
	v_mov_b32_e32 v5, s1
	v_add_co_u32_e32 v4, vcc, s0, v0
	v_addc_co_u32_e32 v5, vcc, v5, v1, vcc
	global_load_dwordx2 v[2:3], v[2:3], off
	v_mov_b32_e32 v14, s3
	global_load_dwordx2 v[4:5], v[4:5], off
	s_waitcnt vmcnt(0)
	v_div_scale_f64 v[6:7], s[0:1], v[4:5], v[4:5], v[2:3]
	v_rcp_f64_e32 v[8:9], v[6:7]
	v_div_scale_f64 v[10:11], vcc, v[2:3], v[4:5], v[2:3]
	v_fma_f64 v[12:13], -v[6:7], v[8:9], 1.0
	v_fmac_f64_e32 v[8:9], v[8:9], v[12:13]
	v_fma_f64 v[12:13], -v[6:7], v[8:9], 1.0
	v_fmac_f64_e32 v[8:9], v[8:9], v[12:13]
	v_mul_f64 v[12:13], v[10:11], v[8:9]
	v_fma_f64 v[6:7], -v[6:7], v[12:13], v[10:11]
	v_div_fmas_f64 v[6:7], v[6:7], v[8:9], v[12:13]
	v_add_co_u32_e32 v0, vcc, s2, v0
	v_div_fixup_f64 v[2:3], v[6:7], v[4:5], v[2:3]
	v_addc_co_u32_e32 v1, vcc, v14, v1, vcc
	global_store_dwordx2 v[0:1], v[2:3], off
.LBB0_2:
	s_endpgm
	.section	.rodata,"a",@progbits
	.p2align	6, 0x0
	.amdhsa_kernel _Z9ccc_loop1PKiS0_PKdS2_S2_S2_PdiiPi
		.amdhsa_group_segment_fixed_size 0
		.amdhsa_private_segment_fixed_size 0
		.amdhsa_kernarg_size 328
		.amdhsa_user_sgpr_count 6
		.amdhsa_user_sgpr_private_segment_buffer 1
		.amdhsa_user_sgpr_dispatch_ptr 0
		.amdhsa_user_sgpr_queue_ptr 0
		.amdhsa_user_sgpr_kernarg_segment_ptr 1
		.amdhsa_user_sgpr_dispatch_id 0
		.amdhsa_user_sgpr_flat_scratch_init 0
		.amdhsa_user_sgpr_kernarg_preload_length 0
		.amdhsa_user_sgpr_kernarg_preload_offset 0
		.amdhsa_user_sgpr_private_segment_size 0
		.amdhsa_uses_dynamic_stack 0
		.amdhsa_system_sgpr_private_segment_wavefront_offset 0
		.amdhsa_system_sgpr_workgroup_id_x 1
		.amdhsa_system_sgpr_workgroup_id_y 1
		.amdhsa_system_sgpr_workgroup_id_z 0
		.amdhsa_system_sgpr_workgroup_info 0
		.amdhsa_system_vgpr_workitem_id 1
		.amdhsa_next_free_vgpr 15
		.amdhsa_next_free_sgpr 10
		.amdhsa_accum_offset 16
		.amdhsa_reserve_vcc 1
		.amdhsa_reserve_flat_scratch 0
		.amdhsa_float_round_mode_32 0
		.amdhsa_float_round_mode_16_64 0
		.amdhsa_float_denorm_mode_32 3
		.amdhsa_float_denorm_mode_16_64 3
		.amdhsa_dx10_clamp 1
		.amdhsa_ieee_mode 1
		.amdhsa_fp16_overflow 0
		.amdhsa_tg_split 0
		.amdhsa_exception_fp_ieee_invalid_op 0
		.amdhsa_exception_fp_denorm_src 0
		.amdhsa_exception_fp_ieee_div_zero 0
		.amdhsa_exception_fp_ieee_overflow 0
		.amdhsa_exception_fp_ieee_underflow 0
		.amdhsa_exception_fp_ieee_inexact 0
		.amdhsa_exception_int_div_zero 0
	.end_amdhsa_kernel
	.text
.Lfunc_end0:
	.size	_Z9ccc_loop1PKiS0_PKdS2_S2_S2_PdiiPi, .Lfunc_end0-_Z9ccc_loop1PKiS0_PKdS2_S2_S2_PdiiPi
                                        ; -- End function
	.section	.AMDGPU.csdata,"",@progbits
; Kernel info:
; codeLenInByte = 272
; NumSgprs: 14
; NumVgprs: 15
; NumAgprs: 0
; TotalNumVgprs: 15
; ScratchSize: 0
; MemoryBound: 0
; FloatMode: 240
; IeeeMode: 1
; LDSByteSize: 0 bytes/workgroup (compile time only)
; SGPRBlocks: 1
; VGPRBlocks: 1
; NumSGPRsForWavesPerEU: 14
; NumVGPRsForWavesPerEU: 15
; AccumOffset: 16
; Occupancy: 8
; WaveLimiterHint : 0
; COMPUTE_PGM_RSRC2:SCRATCH_EN: 0
; COMPUTE_PGM_RSRC2:USER_SGPR: 6
; COMPUTE_PGM_RSRC2:TRAP_HANDLER: 0
; COMPUTE_PGM_RSRC2:TGID_X_EN: 1
; COMPUTE_PGM_RSRC2:TGID_Y_EN: 1
; COMPUTE_PGM_RSRC2:TGID_Z_EN: 0
; COMPUTE_PGM_RSRC2:TIDIG_COMP_CNT: 1
; COMPUTE_PGM_RSRC3_GFX90A:ACCUM_OFFSET: 3
; COMPUTE_PGM_RSRC3_GFX90A:TG_SPLIT: 0
	.text
	.protected	_Z11ccc_loop1_2PKdS0_S0_PdPKiiS3_S3_ii ; -- Begin function _Z11ccc_loop1_2PKdS0_S0_PdPKiiS3_S3_ii
	.globl	_Z11ccc_loop1_2PKdS0_S0_PdPKiiS3_S3_ii
	.p2align	8
	.type	_Z11ccc_loop1_2PKdS0_S0_PdPKiiS3_S3_ii,@function
_Z11ccc_loop1_2PKdS0_S0_PdPKiiS3_S3_ii: ; @_Z11ccc_loop1_2PKdS0_S0_PdPKiiS3_S3_ii
; %bb.0:
	s_load_dword s0, s[4:5], 0x54
	s_load_dword s1, s[4:5], 0x28
	s_waitcnt lgkmcnt(0)
	s_and_b32 s0, s0, 0xffff
	s_mul_i32 s6, s6, s0
	v_add_u32_e32 v0, s6, v0
	v_cmp_gt_i32_e32 vcc, s1, v0
	s_and_saveexec_b64 s[0:1], vcc
	s_cbranch_execz .LBB1_6
; %bb.1:
	s_load_dwordx2 s[0:1], s[4:5], 0x20
	v_ashrrev_i32_e32 v1, 31, v0
	v_lshlrev_b64 v[2:3], 2, v[0:1]
	s_waitcnt lgkmcnt(0)
	v_mov_b32_e32 v1, s1
	v_add_co_u32_e32 v0, vcc, s0, v2
	v_addc_co_u32_e32 v1, vcc, v1, v3, vcc
	global_load_dwordx2 v[4:5], v[0:1], off
	s_load_dwordx4 s[0:3], s[4:5], 0x10
	s_load_dwordx4 s[8:11], s[4:5], 0x30
	v_pk_mov_b32 v[0:1], 0, 0
	s_waitcnt vmcnt(0)
	v_cmp_lt_i32_e32 vcc, v4, v5
	s_and_saveexec_b64 s[6:7], vcc
	s_cbranch_execz .LBB1_5
; %bb.2:
	s_load_dwordx4 s[12:15], s[4:5], 0x0
	v_ashrrev_i32_e32 v1, 31, v4
	v_mov_b32_e32 v0, v4
	v_lshlrev_b64 v[0:1], 3, v[0:1]
	s_waitcnt lgkmcnt(0)
	v_mov_b32_e32 v7, s13
	v_add_co_u32_e32 v6, vcc, s12, v0
	v_addc_co_u32_e32 v7, vcc, v7, v1, vcc
	v_mov_b32_e32 v9, s15
	v_add_co_u32_e32 v8, vcc, s14, v0
	v_addc_co_u32_e32 v9, vcc, v9, v1, vcc
	s_mov_b64 s[12:13], 0
	v_pk_mov_b32 v[0:1], 0, 0
.LBB1_3:                                ; =>This Inner Loop Header: Depth=1
	global_load_dwordx2 v[10:11], v[6:7], off
	global_load_dwordx2 v[12:13], v[8:9], off
	v_add_co_u32_e32 v6, vcc, 8, v6
	v_addc_co_u32_e32 v7, vcc, 0, v7, vcc
	v_add_co_u32_e32 v8, vcc, 8, v8
	v_add_u32_e32 v4, 1, v4
	v_addc_co_u32_e32 v9, vcc, 0, v9, vcc
	v_cmp_ge_i32_e32 vcc, v4, v5
	s_or_b64 s[12:13], vcc, s[12:13]
	s_waitcnt vmcnt(0)
	v_fmac_f64_e32 v[0:1], v[10:11], v[12:13]
	s_andn2_b64 exec, exec, s[12:13]
	s_cbranch_execnz .LBB1_3
; %bb.4:
	s_or_b64 exec, exec, s[12:13]
.LBB1_5:
	s_or_b64 exec, exec, s[6:7]
	s_waitcnt lgkmcnt(0)
	v_mov_b32_e32 v5, s9
	v_add_co_u32_e32 v4, vcc, s8, v2
	v_addc_co_u32_e32 v5, vcc, v5, v3, vcc
	global_load_dword v4, v[4:5], off
	v_mov_b32_e32 v5, s11
	v_add_co_u32_e32 v2, vcc, s10, v2
	v_addc_co_u32_e32 v3, vcc, v5, v3, vcc
	global_load_dword v2, v[2:3], off
	s_load_dword s4, s[4:5], 0x40
	v_mov_b32_e32 v5, s1
	v_mov_b32_e32 v14, s3
	s_waitcnt vmcnt(0) lgkmcnt(0)
	v_mad_u64_u32 v[2:3], s[4:5], v2, s4, v[4:5]
	v_ashrrev_i32_e32 v3, 31, v2
	v_lshlrev_b64 v[2:3], 3, v[2:3]
	v_add_co_u32_e32 v4, vcc, s0, v2
	v_addc_co_u32_e32 v5, vcc, v5, v3, vcc
	global_load_dwordx2 v[4:5], v[4:5], off
	s_waitcnt vmcnt(0)
	v_div_scale_f64 v[6:7], s[0:1], v[4:5], v[4:5], v[0:1]
	v_rcp_f64_e32 v[8:9], v[6:7]
	v_div_scale_f64 v[10:11], vcc, v[0:1], v[4:5], v[0:1]
	v_fma_f64 v[12:13], -v[6:7], v[8:9], 1.0
	v_fmac_f64_e32 v[8:9], v[8:9], v[12:13]
	v_fma_f64 v[12:13], -v[6:7], v[8:9], 1.0
	v_fmac_f64_e32 v[8:9], v[8:9], v[12:13]
	v_mul_f64 v[12:13], v[10:11], v[8:9]
	v_fma_f64 v[6:7], -v[6:7], v[12:13], v[10:11]
	v_div_fmas_f64 v[6:7], v[6:7], v[8:9], v[12:13]
	v_add_co_u32_e32 v2, vcc, s2, v2
	v_div_fixup_f64 v[0:1], v[6:7], v[4:5], v[0:1]
	v_addc_co_u32_e32 v3, vcc, v14, v3, vcc
	global_store_dwordx2 v[2:3], v[0:1], off
.LBB1_6:
	s_endpgm
	.section	.rodata,"a",@progbits
	.p2align	6, 0x0
	.amdhsa_kernel _Z11ccc_loop1_2PKdS0_S0_PdPKiiS3_S3_ii
		.amdhsa_group_segment_fixed_size 0
		.amdhsa_private_segment_fixed_size 0
		.amdhsa_kernarg_size 328
		.amdhsa_user_sgpr_count 6
		.amdhsa_user_sgpr_private_segment_buffer 1
		.amdhsa_user_sgpr_dispatch_ptr 0
		.amdhsa_user_sgpr_queue_ptr 0
		.amdhsa_user_sgpr_kernarg_segment_ptr 1
		.amdhsa_user_sgpr_dispatch_id 0
		.amdhsa_user_sgpr_flat_scratch_init 0
		.amdhsa_user_sgpr_kernarg_preload_length 0
		.amdhsa_user_sgpr_kernarg_preload_offset 0
		.amdhsa_user_sgpr_private_segment_size 0
		.amdhsa_uses_dynamic_stack 0
		.amdhsa_system_sgpr_private_segment_wavefront_offset 0
		.amdhsa_system_sgpr_workgroup_id_x 1
		.amdhsa_system_sgpr_workgroup_id_y 0
		.amdhsa_system_sgpr_workgroup_id_z 0
		.amdhsa_system_sgpr_workgroup_info 0
		.amdhsa_system_vgpr_workitem_id 0
		.amdhsa_next_free_vgpr 15
		.amdhsa_next_free_sgpr 16
		.amdhsa_accum_offset 16
		.amdhsa_reserve_vcc 1
		.amdhsa_reserve_flat_scratch 0
		.amdhsa_float_round_mode_32 0
		.amdhsa_float_round_mode_16_64 0
		.amdhsa_float_denorm_mode_32 3
		.amdhsa_float_denorm_mode_16_64 3
		.amdhsa_dx10_clamp 1
		.amdhsa_ieee_mode 1
		.amdhsa_fp16_overflow 0
		.amdhsa_tg_split 0
		.amdhsa_exception_fp_ieee_invalid_op 0
		.amdhsa_exception_fp_denorm_src 0
		.amdhsa_exception_fp_ieee_div_zero 0
		.amdhsa_exception_fp_ieee_overflow 0
		.amdhsa_exception_fp_ieee_underflow 0
		.amdhsa_exception_fp_ieee_inexact 0
		.amdhsa_exception_int_div_zero 0
	.end_amdhsa_kernel
	.text
.Lfunc_end1:
	.size	_Z11ccc_loop1_2PKdS0_S0_PdPKiiS3_S3_ii, .Lfunc_end1-_Z11ccc_loop1_2PKdS0_S0_PdPKiiS3_S3_ii
                                        ; -- End function
	.section	.AMDGPU.csdata,"",@progbits
; Kernel info:
; codeLenInByte = 464
; NumSgprs: 20
; NumVgprs: 15
; NumAgprs: 0
; TotalNumVgprs: 15
; ScratchSize: 0
; MemoryBound: 0
; FloatMode: 240
; IeeeMode: 1
; LDSByteSize: 0 bytes/workgroup (compile time only)
; SGPRBlocks: 2
; VGPRBlocks: 1
; NumSGPRsForWavesPerEU: 20
; NumVGPRsForWavesPerEU: 15
; AccumOffset: 16
; Occupancy: 8
; WaveLimiterHint : 1
; COMPUTE_PGM_RSRC2:SCRATCH_EN: 0
; COMPUTE_PGM_RSRC2:USER_SGPR: 6
; COMPUTE_PGM_RSRC2:TRAP_HANDLER: 0
; COMPUTE_PGM_RSRC2:TGID_X_EN: 1
; COMPUTE_PGM_RSRC2:TGID_Y_EN: 0
; COMPUTE_PGM_RSRC2:TGID_Z_EN: 0
; COMPUTE_PGM_RSRC2:TIDIG_COMP_CNT: 0
; COMPUTE_PGM_RSRC3_GFX90A:ACCUM_OFFSET: 3
; COMPUTE_PGM_RSRC3_GFX90A:TG_SPLIT: 0
	.text
	.protected	_Z9ccc_loop2PKiS0_S0_PKdS2_S2_S2_S2_S2_PdS3_iiPi ; -- Begin function _Z9ccc_loop2PKiS0_S0_PKdS2_S2_S2_S2_S2_PdS3_iiPi
	.globl	_Z9ccc_loop2PKiS0_S0_PKdS2_S2_S2_S2_S2_PdS3_iiPi
	.p2align	8
	.type	_Z9ccc_loop2PKiS0_S0_PKdS2_S2_S2_S2_S2_PdS3_iiPi,@function
_Z9ccc_loop2PKiS0_S0_PKdS2_S2_S2_S2_S2_PdS3_iiPi: ; @_Z9ccc_loop2PKiS0_S0_PKdS2_S2_S2_S2_S2_PdS3_iiPi
; %bb.0:
	s_load_dword s0, s[4:5], 0x74
	s_load_dwordx2 s[2:3], s[4:5], 0x58
	v_and_b32_e32 v1, 0x3ff, v0
	v_bfe_u32 v0, v0, 10, 10
	s_waitcnt lgkmcnt(0)
	s_lshr_b32 s1, s0, 16
	s_and_b32 s0, s0, 0xffff
	s_mul_i32 s6, s6, s0
	s_mul_i32 s7, s7, s1
	v_add_u32_e32 v2, s6, v1
	v_add_u32_e32 v0, s7, v0
	v_cmp_gt_i32_e32 vcc, s2, v2
	v_cmp_gt_i32_e64 s[0:1], s3, v0
	s_and_b64 s[0:1], vcc, s[0:1]
	s_and_saveexec_b64 s[6:7], s[0:1]
	s_cbranch_execz .LBB2_3
; %bb.1:
	s_load_dwordx2 s[0:1], s[4:5], 0x0
	v_mad_u64_u32 v[0:1], s[2:3], v0, s2, v[2:3]
	v_ashrrev_i32_e32 v1, 31, v0
	v_lshlrev_b64 v[2:3], 2, v[0:1]
	s_waitcnt lgkmcnt(0)
	v_mov_b32_e32 v4, s1
	v_add_co_u32_e32 v2, vcc, s0, v2
	v_addc_co_u32_e32 v3, vcc, v4, v3, vcc
	global_load_dword v2, v[2:3], off
	s_waitcnt vmcnt(0)
	v_cmp_lt_i32_e32 vcc, 0, v2
	s_and_b64 exec, exec, vcc
	s_cbranch_execz .LBB2_3
; %bb.2:
	s_load_dwordx4 s[0:3], s[4:5], 0x40
	s_load_dwordx2 s[6:7], s[4:5], 0x18
	s_load_dwordx2 s[8:9], s[4:5], 0x28
	v_mov_b32_e32 v3, 0
	v_lshlrev_b64 v[2:3], 3, v[2:3]
	s_waitcnt lgkmcnt(0)
	v_mov_b32_e32 v4, s1
	v_add_co_u32_e32 v2, vcc, s0, v2
	v_addc_co_u32_e32 v3, vcc, v4, v3, vcc
	v_lshlrev_b64 v[0:1], 3, v[0:1]
	v_mov_b32_e32 v5, s7
	v_add_co_u32_e32 v4, vcc, s6, v0
	v_addc_co_u32_e32 v5, vcc, v5, v1, vcc
	v_mov_b32_e32 v7, s9
	v_add_co_u32_e32 v6, vcc, s8, v0
	global_load_dwordx2 v[2:3], v[2:3], off offset:-8
	v_addc_co_u32_e32 v7, vcc, v7, v1, vcc
	global_load_dwordx2 v[4:5], v[4:5], off
	v_mov_b32_e32 v8, s3
	global_load_dwordx2 v[6:7], v[6:7], off
	v_add_co_u32_e32 v0, vcc, s2, v0
	v_addc_co_u32_e32 v1, vcc, v8, v1, vcc
	s_waitcnt vmcnt(1)
	v_mul_f64 v[2:3], v[2:3], v[4:5]
	s_waitcnt vmcnt(0)
	v_mul_f64 v[2:3], v[2:3], v[6:7]
	global_store_dwordx2 v[0:1], v[2:3], off
.LBB2_3:
	s_endpgm
	.section	.rodata,"a",@progbits
	.p2align	6, 0x0
	.amdhsa_kernel _Z9ccc_loop2PKiS0_S0_PKdS2_S2_S2_S2_S2_PdS3_iiPi
		.amdhsa_group_segment_fixed_size 0
		.amdhsa_private_segment_fixed_size 0
		.amdhsa_kernarg_size 360
		.amdhsa_user_sgpr_count 6
		.amdhsa_user_sgpr_private_segment_buffer 1
		.amdhsa_user_sgpr_dispatch_ptr 0
		.amdhsa_user_sgpr_queue_ptr 0
		.amdhsa_user_sgpr_kernarg_segment_ptr 1
		.amdhsa_user_sgpr_dispatch_id 0
		.amdhsa_user_sgpr_flat_scratch_init 0
		.amdhsa_user_sgpr_kernarg_preload_length 0
		.amdhsa_user_sgpr_kernarg_preload_offset 0
		.amdhsa_user_sgpr_private_segment_size 0
		.amdhsa_uses_dynamic_stack 0
		.amdhsa_system_sgpr_private_segment_wavefront_offset 0
		.amdhsa_system_sgpr_workgroup_id_x 1
		.amdhsa_system_sgpr_workgroup_id_y 1
		.amdhsa_system_sgpr_workgroup_id_z 0
		.amdhsa_system_sgpr_workgroup_info 0
		.amdhsa_system_vgpr_workitem_id 1
		.amdhsa_next_free_vgpr 9
		.amdhsa_next_free_sgpr 10
		.amdhsa_accum_offset 12
		.amdhsa_reserve_vcc 1
		.amdhsa_reserve_flat_scratch 0
		.amdhsa_float_round_mode_32 0
		.amdhsa_float_round_mode_16_64 0
		.amdhsa_float_denorm_mode_32 3
		.amdhsa_float_denorm_mode_16_64 3
		.amdhsa_dx10_clamp 1
		.amdhsa_ieee_mode 1
		.amdhsa_fp16_overflow 0
		.amdhsa_tg_split 0
		.amdhsa_exception_fp_ieee_invalid_op 0
		.amdhsa_exception_fp_denorm_src 0
		.amdhsa_exception_fp_ieee_div_zero 0
		.amdhsa_exception_fp_ieee_overflow 0
		.amdhsa_exception_fp_ieee_underflow 0
		.amdhsa_exception_fp_ieee_inexact 0
		.amdhsa_exception_int_div_zero 0
	.end_amdhsa_kernel
	.text
.Lfunc_end2:
	.size	_Z9ccc_loop2PKiS0_S0_PKdS2_S2_S2_S2_S2_PdS3_iiPi, .Lfunc_end2-_Z9ccc_loop2PKiS0_S0_PKdS2_S2_S2_S2_S2_PdS3_iiPi
                                        ; -- End function
	.section	.AMDGPU.csdata,"",@progbits
; Kernel info:
; codeLenInByte = 312
; NumSgprs: 14
; NumVgprs: 9
; NumAgprs: 0
; TotalNumVgprs: 9
; ScratchSize: 0
; MemoryBound: 0
; FloatMode: 240
; IeeeMode: 1
; LDSByteSize: 0 bytes/workgroup (compile time only)
; SGPRBlocks: 1
; VGPRBlocks: 1
; NumSGPRsForWavesPerEU: 14
; NumVGPRsForWavesPerEU: 9
; AccumOffset: 12
; Occupancy: 8
; WaveLimiterHint : 1
; COMPUTE_PGM_RSRC2:SCRATCH_EN: 0
; COMPUTE_PGM_RSRC2:USER_SGPR: 6
; COMPUTE_PGM_RSRC2:TRAP_HANDLER: 0
; COMPUTE_PGM_RSRC2:TGID_X_EN: 1
; COMPUTE_PGM_RSRC2:TGID_Y_EN: 1
; COMPUTE_PGM_RSRC2:TGID_Z_EN: 0
; COMPUTE_PGM_RSRC2:TIDIG_COMP_CNT: 1
; COMPUTE_PGM_RSRC3_GFX90A:ACCUM_OFFSET: 2
; COMPUTE_PGM_RSRC3_GFX90A:TG_SPLIT: 0
	.text
	.protected	_Z11ccc_loop2_2PKiPKdS2_S2_S2_PdPii ; -- Begin function _Z11ccc_loop2_2PKiPKdS2_S2_S2_PdPii
	.globl	_Z11ccc_loop2_2PKiPKdS2_S2_S2_PdPii
	.p2align	8
	.type	_Z11ccc_loop2_2PKiPKdS2_S2_S2_PdPii,@function
_Z11ccc_loop2_2PKiPKdS2_S2_S2_PdPii:    ; @_Z11ccc_loop2_2PKiPKdS2_S2_S2_PdPii
; %bb.0:
	s_load_dword s0, s[4:5], 0x4c
	s_load_dword s1, s[4:5], 0x38
	s_waitcnt lgkmcnt(0)
	s_and_b32 s0, s0, 0xffff
	s_mul_i32 s6, s6, s0
	v_add_u32_e32 v0, s6, v0
	v_cmp_gt_i32_e32 vcc, s1, v0
	s_and_saveexec_b64 s[0:1], vcc
	s_cbranch_execz .LBB3_2
; %bb.1:
	s_load_dwordx8 s[8:15], s[4:5], 0x0
	v_ashrrev_i32_e32 v1, 31, v0
	v_lshlrev_b64 v[2:3], 2, v[0:1]
	s_load_dwordx4 s[0:3], s[4:5], 0x20
	v_lshlrev_b64 v[0:1], 3, v[0:1]
	s_waitcnt lgkmcnt(0)
	v_mov_b32_e32 v4, s9
	v_add_co_u32_e32 v2, vcc, s8, v2
	v_addc_co_u32_e32 v3, vcc, v4, v3, vcc
	global_load_dword v2, v[2:3], off
	v_mov_b32_e32 v3, s11
	v_add_co_u32_e32 v4, vcc, s10, v0
	v_addc_co_u32_e32 v5, vcc, v3, v1, vcc
	v_mov_b32_e32 v7, s13
	v_add_co_u32_e32 v6, vcc, s12, v0
	v_addc_co_u32_e32 v7, vcc, v7, v1, vcc
	v_mov_b32_e32 v12, s1
	v_mov_b32_e32 v13, s15
	global_load_dwordx2 v[8:9], v[4:5], off
	global_load_dwordx2 v[10:11], v[6:7], off
	v_mov_b32_e32 v14, s3
	s_waitcnt vmcnt(2)
	v_ashrrev_i32_e32 v3, 31, v2
	v_lshlrev_b64 v[2:3], 3, v[2:3]
	v_add_co_u32_e32 v2, vcc, s0, v2
	v_addc_co_u32_e32 v3, vcc, v12, v3, vcc
	global_load_dwordx2 v[2:3], v[2:3], off
	v_add_co_u32_e32 v4, vcc, s14, v0
	v_addc_co_u32_e32 v5, vcc, v13, v1, vcc
	global_load_dwordx2 v[4:5], v[4:5], off
	s_waitcnt vmcnt(1)
	v_mul_f64 v[2:3], v[2:3], v[8:9]
	v_mul_f64 v[2:3], v[2:3], v[10:11]
	s_waitcnt vmcnt(0)
	v_div_scale_f64 v[6:7], s[0:1], v[4:5], v[4:5], v[2:3]
	v_rcp_f64_e32 v[8:9], v[6:7]
	v_div_scale_f64 v[10:11], vcc, v[2:3], v[4:5], v[2:3]
	v_fma_f64 v[12:13], -v[6:7], v[8:9], 1.0
	v_fmac_f64_e32 v[8:9], v[8:9], v[12:13]
	v_fma_f64 v[12:13], -v[6:7], v[8:9], 1.0
	v_fmac_f64_e32 v[8:9], v[8:9], v[12:13]
	v_mul_f64 v[12:13], v[10:11], v[8:9]
	v_fma_f64 v[6:7], -v[6:7], v[12:13], v[10:11]
	v_div_fmas_f64 v[6:7], v[6:7], v[8:9], v[12:13]
	v_add_co_u32_e32 v0, vcc, s2, v0
	v_div_fixup_f64 v[2:3], v[6:7], v[4:5], v[2:3]
	v_addc_co_u32_e32 v1, vcc, v14, v1, vcc
	global_store_dwordx2 v[0:1], v[2:3], off
.LBB3_2:
	s_endpgm
	.section	.rodata,"a",@progbits
	.p2align	6, 0x0
	.amdhsa_kernel _Z11ccc_loop2_2PKiPKdS2_S2_S2_PdPii
		.amdhsa_group_segment_fixed_size 0
		.amdhsa_private_segment_fixed_size 0
		.amdhsa_kernarg_size 320
		.amdhsa_user_sgpr_count 6
		.amdhsa_user_sgpr_private_segment_buffer 1
		.amdhsa_user_sgpr_dispatch_ptr 0
		.amdhsa_user_sgpr_queue_ptr 0
		.amdhsa_user_sgpr_kernarg_segment_ptr 1
		.amdhsa_user_sgpr_dispatch_id 0
		.amdhsa_user_sgpr_flat_scratch_init 0
		.amdhsa_user_sgpr_kernarg_preload_length 0
		.amdhsa_user_sgpr_kernarg_preload_offset 0
		.amdhsa_user_sgpr_private_segment_size 0
		.amdhsa_uses_dynamic_stack 0
		.amdhsa_system_sgpr_private_segment_wavefront_offset 0
		.amdhsa_system_sgpr_workgroup_id_x 1
		.amdhsa_system_sgpr_workgroup_id_y 0
		.amdhsa_system_sgpr_workgroup_id_z 0
		.amdhsa_system_sgpr_workgroup_info 0
		.amdhsa_system_vgpr_workitem_id 0
		.amdhsa_next_free_vgpr 15
		.amdhsa_next_free_sgpr 16
		.amdhsa_accum_offset 16
		.amdhsa_reserve_vcc 1
		.amdhsa_reserve_flat_scratch 0
		.amdhsa_float_round_mode_32 0
		.amdhsa_float_round_mode_16_64 0
		.amdhsa_float_denorm_mode_32 3
		.amdhsa_float_denorm_mode_16_64 3
		.amdhsa_dx10_clamp 1
		.amdhsa_ieee_mode 1
		.amdhsa_fp16_overflow 0
		.amdhsa_tg_split 0
		.amdhsa_exception_fp_ieee_invalid_op 0
		.amdhsa_exception_fp_denorm_src 0
		.amdhsa_exception_fp_ieee_div_zero 0
		.amdhsa_exception_fp_ieee_overflow 0
		.amdhsa_exception_fp_ieee_underflow 0
		.amdhsa_exception_fp_ieee_inexact 0
		.amdhsa_exception_int_div_zero 0
	.end_amdhsa_kernel
	.text
.Lfunc_end3:
	.size	_Z11ccc_loop2_2PKiPKdS2_S2_S2_PdPii, .Lfunc_end3-_Z11ccc_loop2_2PKiPKdS2_S2_S2_PdPii
                                        ; -- End function
	.section	.AMDGPU.csdata,"",@progbits
; Kernel info:
; codeLenInByte = 328
; NumSgprs: 20
; NumVgprs: 15
; NumAgprs: 0
; TotalNumVgprs: 15
; ScratchSize: 0
; MemoryBound: 0
; FloatMode: 240
; IeeeMode: 1
; LDSByteSize: 0 bytes/workgroup (compile time only)
; SGPRBlocks: 2
; VGPRBlocks: 1
; NumSGPRsForWavesPerEU: 20
; NumVGPRsForWavesPerEU: 15
; AccumOffset: 16
; Occupancy: 8
; WaveLimiterHint : 1
; COMPUTE_PGM_RSRC2:SCRATCH_EN: 0
; COMPUTE_PGM_RSRC2:USER_SGPR: 6
; COMPUTE_PGM_RSRC2:TRAP_HANDLER: 0
; COMPUTE_PGM_RSRC2:TGID_X_EN: 1
; COMPUTE_PGM_RSRC2:TGID_Y_EN: 0
; COMPUTE_PGM_RSRC2:TGID_Z_EN: 0
; COMPUTE_PGM_RSRC2:TIDIG_COMP_CNT: 0
; COMPUTE_PGM_RSRC3_GFX90A:ACCUM_OFFSET: 3
; COMPUTE_PGM_RSRC3_GFX90A:TG_SPLIT: 0
	.text
	.protected	_Z9ccc_loop3PKiS0_S0_PKdS2_PdS3_S2_S2_iiPi ; -- Begin function _Z9ccc_loop3PKiS0_S0_PKdS2_PdS3_S2_S2_iiPi
	.globl	_Z9ccc_loop3PKiS0_S0_PKdS2_PdS3_S2_S2_iiPi
	.p2align	8
	.type	_Z9ccc_loop3PKiS0_S0_PKdS2_PdS3_S2_S2_iiPi,@function
_Z9ccc_loop3PKiS0_S0_PKdS2_PdS3_S2_S2_iiPi: ; @_Z9ccc_loop3PKiS0_S0_PKdS2_PdS3_S2_S2_iiPi
; %bb.0:
	s_load_dword s0, s[4:5], 0x64
	s_load_dwordx2 s[8:9], s[4:5], 0x48
	v_and_b32_e32 v1, 0x3ff, v0
	s_waitcnt lgkmcnt(0)
	s_and_b32 s1, s0, 0xffff
	s_mul_i32 s6, s6, s1
	v_add_u32_e32 v46, s6, v1
	s_add_i32 s1, s8, -1
	v_cmp_gt_i32_e32 vcc, s1, v46
	s_and_saveexec_b64 s[2:3], vcc
	s_cbranch_execz .LBB4_206
; %bb.1:
	s_lshr_b32 s0, s0, 16
	s_mul_i32 s7, s7, s0
	v_bfe_u32 v0, v0, 10, 10
	v_add_u32_e32 v49, s7, v0
	s_add_i32 s0, s9, -1
	v_min_i32_e32 v0, v46, v49
	v_cmp_gt_i32_e32 vcc, s0, v49
	v_cmp_lt_i32_e64 s[0:1], 0, v0
	s_and_b64 s[0:1], s[0:1], vcc
	s_and_b64 exec, exec, s[0:1]
	s_cbranch_execz .LBB4_206
; %bb.2:
	s_load_dwordx4 s[0:3], s[4:5], 0x38
	s_load_dwordx2 s[20:21], s[4:5], 0x20
	v_mul_lo_u32 v52, v49, s8
	v_add_u32_e32 v18, v52, v46
	v_ashrrev_i32_e32 v19, 31, v18
	v_lshlrev_b64 v[16:17], 3, v[18:19]
	v_subrev_u32_e32 v53, s8, v52
	s_waitcnt lgkmcnt(0)
	v_mov_b32_e32 v39, s1
	v_add_co_u32_e32 v0, vcc, s0, v16
	v_add_u32_e32 v30, v53, v46
	v_addc_co_u32_e32 v1, vcc, v39, v17, vcc
	v_add_u32_e32 v36, -1, v30
	v_mov_b32_e32 v48, s3
	v_add_co_u32_e32 v4, vcc, s2, v16
	v_ashrrev_i32_e32 v37, 31, v36
	v_addc_co_u32_e32 v5, vcc, v48, v17, vcc
	v_lshlrev_b64 v[24:25], 3, v[36:37]
	v_add_co_u32_e32 v8, vcc, s0, v24
	v_addc_co_u32_e32 v9, vcc, v39, v25, vcc
	global_load_dwordx2 v[20:21], v[8:9], off
	v_add_co_u32_e32 v8, vcc, s2, v24
	v_ashrrev_i32_e32 v31, 31, v30
	v_addc_co_u32_e32 v9, vcc, v48, v25, vcc
	v_lshlrev_b64 v[28:29], 3, v[30:31]
	global_load_dwordx2 v[42:43], v[8:9], off
	v_add_co_u32_e32 v8, vcc, s0, v28
	v_addc_co_u32_e32 v9, vcc, v39, v29, vcc
	v_add_u32_e32 v32, -1, v18
	v_add_co_u32_e32 v12, vcc, s2, v28
	v_ashrrev_i32_e32 v33, 31, v32
	v_addc_co_u32_e32 v13, vcc, v48, v29, vcc
	v_lshlrev_b64 v[40:41], 3, v[32:33]
	v_add_co_u32_e32 v22, vcc, s0, v40
	v_addc_co_u32_e32 v23, vcc, v39, v41, vcc
	v_lshl_add_u32 v47, s8, 1, v53
	global_load_dwordx2 v[44:45], v[22:23], off
	v_add_co_u32_e32 v22, vcc, s2, v40
	v_add_u32_e32 v26, v47, v46
	v_addc_co_u32_e32 v23, vcc, v48, v41, vcc
	v_ashrrev_i32_e32 v27, 31, v26
	global_load_dwordx2 v[62:63], v[22:23], off
	v_lshlrev_b64 v[22:23], 3, v[26:27]
	v_add_co_u32_e32 v34, vcc, s0, v22
	v_addc_co_u32_e32 v35, vcc, v39, v23, vcc
	global_load_dwordx4 v[54:57], v[34:35], off
	v_add_u32_e32 v34, -1, v26
	v_ashrrev_i32_e32 v35, 31, v34
	v_lshlrev_b64 v[50:51], 3, v[34:35]
	v_add_co_u32_e32 v38, vcc, s0, v50
	global_load_dwordx4 v[0:3], v[0:1], off
	v_addc_co_u32_e32 v39, vcc, v39, v51, vcc
	global_load_dwordx4 v[4:7], v[4:5], off
	v_lshlrev_b64 v[18:19], 2, v[18:19]
	global_load_dwordx4 v[8:11], v[8:9], off
	s_load_dwordx2 s[6:7], s[4:5], 0x50
	global_load_dwordx4 v[12:15], v[12:13], off
	s_load_dwordx2 s[8:9], s[4:5], 0x0
	s_load_dwordx4 s[16:19], s[4:5], 0x10
	global_load_dwordx2 v[64:65], v[38:39], off
	v_add_co_u32_e32 v38, vcc, s2, v50
	v_addc_co_u32_e32 v39, vcc, v48, v51, vcc
	global_load_dwordx2 v[66:67], v[38:39], off
	v_add_co_u32_e32 v38, vcc, s2, v22
	v_addc_co_u32_e32 v39, vcc, v48, v23, vcc
	global_load_dwordx4 v[58:61], v[38:39], off
	s_waitcnt lgkmcnt(0)
	v_mov_b32_e32 v39, s9
	v_add_co_u32_e32 v38, vcc, s8, v18
	v_addc_co_u32_e32 v39, vcc, v39, v19, vcc
	global_load_dword v48, v[38:39], off
	s_waitcnt vmcnt(7)
	v_add_f64 v[18:19], v[0:1], -v[20:21]
	v_add_f64 v[44:45], v[0:1], -v[44:45]
	;; [unrolled: 1-line block ×3, first 2 shown]
	s_waitcnt vmcnt(6)
	v_add_f64 v[20:21], v[4:5], -v[42:43]
	v_add_f64 v[62:63], v[4:5], -v[62:63]
	s_waitcnt vmcnt(5)
	v_add_f64 v[42:43], v[0:1], -v[10:11]
	v_mul_f64 v[20:21], v[20:21], v[20:21]
	s_waitcnt vmcnt(4)
	v_add_f64 v[10:11], v[4:5], -v[12:13]
	v_add_f64 v[12:13], v[4:5], -v[14:15]
	v_mul_f64 v[14:15], v[12:13], v[12:13]
	v_mul_f64 v[12:13], v[62:63], v[62:63]
	v_add_f64 v[8:9], v[0:1], -v[8:9]
	v_fmac_f64_e32 v[20:21], v[18:19], v[18:19]
	v_mul_f64 v[18:19], v[10:11], v[10:11]
	v_fmac_f64_e32 v[14:15], v[42:43], v[42:43]
	v_fmac_f64_e32 v[12:13], v[44:45], v[44:45]
	v_add_f64 v[42:43], v[0:1], -v[54:55]
	v_add_f64 v[44:45], v[0:1], -v[56:57]
	s_waitcnt vmcnt(3)
	v_add_f64 v[54:55], v[0:1], -v[64:65]
	v_add_f64 v[0:1], v[0:1], -v[2:3]
	;; [unrolled: 1-line block ×3, first 2 shown]
	v_fmac_f64_e32 v[18:19], v[8:9], v[8:9]
	v_mul_f64 v[8:9], v[2:3], v[2:3]
	v_fmac_f64_e32 v[8:9], v[0:1], v[0:1]
	s_waitcnt vmcnt(2)
	v_add_f64 v[0:1], v[4:5], -v[66:67]
	v_mul_f64 v[6:7], v[0:1], v[0:1]
	s_waitcnt vmcnt(1)
	v_add_f64 v[0:1], v[4:5], -v[58:59]
	v_add_f64 v[70:71], v[4:5], -v[4:5]
	v_mul_f64 v[2:3], v[0:1], v[0:1]
	v_add_f64 v[0:1], v[4:5], -v[60:61]
	v_mul_f64 v[10:11], v[70:71], v[70:71]
	v_mul_f64 v[0:1], v[0:1], v[0:1]
	v_fmac_f64_e32 v[10:11], v[68:69], v[68:69]
	v_fmac_f64_e32 v[6:7], v[54:55], v[54:55]
	;; [unrolled: 1-line block ×4, first 2 shown]
	s_waitcnt vmcnt(0)
	v_cmp_lt_i32_e32 vcc, 0, v48
	s_and_saveexec_b64 s[0:1], vcc
	s_xor_b64 s[10:11], exec, s[0:1]
	s_cbranch_execz .LBB4_84
; %bb.3:
	v_add_u32_e32 v39, -1, v46
	v_add_u32_e32 v4, v39, v53
	v_mov_b32_e32 v5, 0
	v_lshlrev_b64 v[24:25], 2, v[4:5]
	v_mov_b32_e32 v32, s9
	v_add_co_u32_e32 v24, vcc, s8, v24
	v_addc_co_u32_e32 v25, vcc, v32, v25, vcc
	global_load_dword v34, v[24:25], off
	s_mov_b64 s[0:1], 0
                                        ; implicit-def: $vgpr32_vgpr33
                                        ; implicit-def: $sgpr14
                                        ; implicit-def: $sgpr12_sgpr13
	s_waitcnt vmcnt(0)
	v_cmp_lt_i32_e32 vcc, 0, v34
	s_and_saveexec_b64 s[2:3], vcc
	s_xor_b64 s[2:3], exec, s[2:3]
	s_cbranch_execz .LBB4_7
; %bb.4:
	v_cmp_eq_u32_e32 vcc, v48, v34
	s_mov_b64 s[12:13], 0
                                        ; implicit-def: $vgpr32_vgpr33
	s_and_saveexec_b64 s[14:15], vcc
	s_xor_b64 s[14:15], exec, s[14:15]
; %bb.5:
	v_lshlrev_b64 v[4:5], 3, v[4:5]
	v_mov_b32_e32 v24, s19
	v_add_co_u32_e32 v32, vcc, s18, v4
	s_mov_b64 s[0:1], exec
	v_addc_co_u32_e32 v33, vcc, v24, v5, vcc
; %bb.6:
	s_or_b64 exec, exec, s[14:15]
	s_mov_b32 s14, 0
	s_and_b64 s[0:1], s[0:1], exec
                                        ; implicit-def: $vgpr34
.LBB4_7:
	s_or_saveexec_b64 s[2:3], s[2:3]
	v_add_u32_e32 v38, -1, v48
	v_mov_b32_e32 v5, s14
	v_pk_mov_b32 v[24:25], s[12:13], s[12:13] op_sel:[0,1]
	s_xor_b64 exec, exec, s[2:3]
	s_cbranch_execnz .LBB4_11
; %bb.8:
	s_or_b64 exec, exec, s[2:3]
	s_and_saveexec_b64 s[2:3], s[0:1]
	s_cbranch_execnz .LBB4_20
.LBB4_9:
	s_or_b64 exec, exec, s[2:3]
	v_cmp_lt_i32_e64 s[0:1], -1, v46
	s_and_saveexec_b64 s[2:3], s[0:1]
	s_cbranch_execnz .LBB4_21
.LBB4_10:
	s_or_b64 exec, exec, s[2:3]
	v_cmp_lt_i32_e64 s[2:3], -2, v46
	s_and_saveexec_b64 s[12:13], s[2:3]
	s_cbranch_execnz .LBB4_26
	s_branch .LBB4_31
.LBB4_11:
	v_sub_u32_e32 v4, 0, v34
	v_mov_b32_e32 v5, 0
	v_lshlrev_b64 v[24:25], 2, v[4:5]
	v_sub_u32_e32 v32, 1, v34
	v_mov_b32_e32 v4, s7
	v_add_co_u32_e32 v24, vcc, s6, v24
	v_ashrrev_i32_e32 v33, 31, v32
	v_addc_co_u32_e32 v25, vcc, v4, v25, vcc
	v_lshlrev_b64 v[32:33], 2, v[32:33]
	v_add_co_u32_e32 v32, vcc, s6, v32
	v_addc_co_u32_e32 v33, vcc, v4, v33, vcc
	global_load_dword v34, v[24:25], off
	global_load_dword v4, v[32:33], off
	v_pk_mov_b32 v[24:25], 0, 0
	s_mov_b64 s[14:15], s[0:1]
                                        ; implicit-def: $vgpr32_vgpr33
	s_waitcnt vmcnt(0)
	v_cmp_lt_i32_e32 vcc, v34, v4
	s_and_saveexec_b64 s[12:13], vcc
	s_cbranch_execz .LBB4_19
; %bb.12:
	v_ashrrev_i32_e32 v35, 31, v34
	v_lshlrev_b64 v[24:25], 2, v[34:35]
	v_mov_b32_e32 v5, s17
	v_add_co_u32_e32 v32, vcc, s16, v24
	v_addc_co_u32_e32 v33, vcc, v5, v25, vcc
	s_mov_b64 s[22:23], 0
                                        ; implicit-def: $sgpr14_sgpr15
                                        ; implicit-def: $sgpr26_sgpr27
                                        ; implicit-def: $sgpr24_sgpr25
	s_branch .LBB4_14
.LBB4_13:                               ;   in Loop: Header=BB4_14 Depth=1
	s_or_b64 exec, exec, s[28:29]
	s_and_b64 s[28:29], exec, s[26:27]
	s_or_b64 s[22:23], s[28:29], s[22:23]
	s_andn2_b64 s[14:15], s[14:15], exec
	s_and_b64 s[28:29], s[24:25], exec
	v_pk_mov_b32 v[24:25], s[30:31], s[30:31] op_sel:[0,1]
	v_mov_b32_e32 v5, s33
	s_or_b64 s[14:15], s[14:15], s[28:29]
	s_andn2_b64 exec, exec, s[22:23]
	s_cbranch_execz .LBB4_16
.LBB4_14:                               ; =>This Inner Loop Header: Depth=1
	global_load_dword v5, v[32:33], off
	v_pk_mov_b32 v[36:37], v[34:35], v[34:35] op_sel:[0,1]
	s_or_b64 s[24:25], s[24:25], exec
	s_or_b64 s[26:27], s[26:27], exec
                                        ; implicit-def: $vgpr34_vgpr35
                                        ; implicit-def: $sgpr30_sgpr31
                                        ; implicit-def: $sgpr33
	s_waitcnt vmcnt(0)
	v_cmp_ne_u32_e32 vcc, v5, v38
	s_and_saveexec_b64 s[28:29], vcc
	s_cbranch_execz .LBB4_13
; %bb.15:                               ;   in Loop: Header=BB4_14 Depth=1
	v_add_co_u32_e32 v34, vcc, 1, v36
	v_addc_co_u32_e32 v35, vcc, 0, v37, vcc
	v_add_co_u32_e32 v32, vcc, 4, v32
	v_addc_co_u32_e32 v33, vcc, 0, v33, vcc
	v_cmp_ge_i32_e32 vcc, v34, v4
	s_andn2_b64 s[26:27], s[26:27], exec
	s_and_b64 s[34:35], vcc, exec
	s_mov_b32 s33, 0
	s_mov_b64 s[30:31], 0
	s_andn2_b64 s[24:25], s[24:25], exec
	s_or_b64 s[26:27], s[26:27], s[34:35]
	s_branch .LBB4_13
.LBB4_16:
	s_or_b64 exec, exec, s[22:23]
	s_mov_b64 s[22:23], s[0:1]
                                        ; implicit-def: $vgpr32_vgpr33
	s_and_saveexec_b64 s[24:25], s[14:15]
	s_xor_b64 s[14:15], exec, s[24:25]
; %bb.17:
	v_lshlrev_b64 v[32:33], 3, v[36:37]
	v_mov_b32_e32 v4, s21
	v_add_co_u32_e32 v32, vcc, s20, v32
	v_addc_co_u32_e32 v33, vcc, v4, v33, vcc
	s_or_b64 s[22:23], s[0:1], exec
; %bb.18:
	s_or_b64 exec, exec, s[14:15]
	s_andn2_b64 s[14:15], s[0:1], exec
	s_and_b64 s[22:23], s[22:23], exec
	s_or_b64 s[14:15], s[14:15], s[22:23]
.LBB4_19:
	s_or_b64 exec, exec, s[12:13]
	s_andn2_b64 s[0:1], s[0:1], exec
	s_and_b64 s[12:13], s[14:15], exec
	s_or_b64 s[0:1], s[0:1], s[12:13]
	s_or_b64 exec, exec, s[2:3]
	s_and_saveexec_b64 s[2:3], s[0:1]
	s_cbranch_execz .LBB4_9
.LBB4_20:
	global_load_dwordx2 v[4:5], v[32:33], off
	s_waitcnt vmcnt(0)
	v_div_scale_f64 v[24:25], s[0:1], v[20:21], v[20:21], v[4:5]
	v_rcp_f64_e32 v[32:33], v[24:25]
	v_div_scale_f64 v[34:35], vcc, v[4:5], v[20:21], v[4:5]
	v_fma_f64 v[36:37], -v[24:25], v[32:33], 1.0
	v_fmac_f64_e32 v[32:33], v[32:33], v[36:37]
	v_fma_f64 v[36:37], -v[24:25], v[32:33], 1.0
	v_fmac_f64_e32 v[32:33], v[32:33], v[36:37]
	v_mul_f64 v[36:37], v[34:35], v[32:33]
	v_fma_f64 v[24:25], -v[24:25], v[36:37], v[34:35]
	v_div_fmas_f64 v[24:25], v[24:25], v[32:33], v[36:37]
	v_div_fixup_f64 v[4:5], v[24:25], v[20:21], v[4:5]
	v_add_f64 v[24:25], v[4:5], 0
	v_mov_b32_e32 v5, 1
	s_or_b64 exec, exec, s[2:3]
	v_cmp_lt_i32_e64 s[0:1], -1, v46
	s_and_saveexec_b64 s[2:3], s[0:1]
	s_cbranch_execz .LBB4_10
.LBB4_21:
	v_lshlrev_b64 v[20:21], 2, v[30:31]
	v_mov_b32_e32 v4, s9
	v_add_co_u32_e32 v20, vcc, s8, v20
	v_addc_co_u32_e32 v21, vcc, v4, v21, vcc
	global_load_dword v4, v[20:21], off
	s_mov_b64 s[12:13], 0
                                        ; implicit-def: $vgpr20_vgpr21
	s_waitcnt vmcnt(0)
	v_cmp_lt_i32_e32 vcc, 0, v4
	s_and_saveexec_b64 s[14:15], vcc
	s_xor_b64 s[14:15], exec, s[14:15]
	s_cbranch_execnz .LBB4_35
; %bb.22:
	s_andn2_saveexec_b64 s[14:15], s[14:15]
	s_cbranch_execnz .LBB4_38
.LBB4_23:
	s_or_b64 exec, exec, s[14:15]
	s_and_saveexec_b64 s[14:15], s[12:13]
	s_cbranch_execz .LBB4_25
.LBB4_24:
	global_load_dwordx2 v[20:21], v[20:21], off
	v_add_u32_e32 v5, 1, v5
	s_waitcnt vmcnt(0)
	v_div_scale_f64 v[28:29], s[12:13], v[18:19], v[18:19], v[20:21]
	v_rcp_f64_e32 v[30:31], v[28:29]
	v_div_scale_f64 v[32:33], vcc, v[20:21], v[18:19], v[20:21]
	v_fma_f64 v[34:35], -v[28:29], v[30:31], 1.0
	v_fmac_f64_e32 v[30:31], v[30:31], v[34:35]
	v_fma_f64 v[34:35], -v[28:29], v[30:31], 1.0
	v_fmac_f64_e32 v[30:31], v[30:31], v[34:35]
	v_mul_f64 v[34:35], v[32:33], v[30:31]
	v_fma_f64 v[28:29], -v[28:29], v[34:35], v[32:33]
	v_div_fmas_f64 v[28:29], v[28:29], v[30:31], v[34:35]
	v_div_fixup_f64 v[18:19], v[28:29], v[18:19], v[20:21]
	v_add_f64 v[24:25], v[24:25], v[18:19]
.LBB4_25:
	s_or_b64 exec, exec, s[14:15]
	s_or_b64 exec, exec, s[2:3]
	v_cmp_lt_i32_e64 s[2:3], -2, v46
	s_and_saveexec_b64 s[12:13], s[2:3]
	s_cbranch_execz .LBB4_31
.LBB4_26:
	v_add_co_u32_e32 v20, vcc, v46, v53
	v_addc_co_u32_e64 v21, s[14:15], 0, 0, vcc
	v_lshlrev_b64 v[18:19], 2, v[20:21]
	v_mov_b32_e32 v4, s9
	v_add_co_u32_e32 v18, vcc, s8, v18
	v_addc_co_u32_e32 v19, vcc, v4, v19, vcc
	global_load_dword v4, v[18:19], off offset:4
	s_mov_b64 s[14:15], 0
                                        ; implicit-def: $vgpr18_vgpr19
	s_waitcnt vmcnt(0)
	v_cmp_lt_i32_e32 vcc, 0, v4
	s_and_saveexec_b64 s[22:23], vcc
	s_xor_b64 s[22:23], exec, s[22:23]
	s_cbranch_execnz .LBB4_43
; %bb.27:
	s_andn2_saveexec_b64 s[22:23], s[22:23]
	s_cbranch_execnz .LBB4_46
.LBB4_28:
	s_or_b64 exec, exec, s[22:23]
	s_and_saveexec_b64 s[22:23], s[14:15]
	s_cbranch_execz .LBB4_30
.LBB4_29:
	global_load_dwordx2 v[18:19], v[18:19], off
	v_add_u32_e32 v5, 1, v5
	s_waitcnt vmcnt(0)
	v_div_scale_f64 v[20:21], s[14:15], v[14:15], v[14:15], v[18:19]
	v_rcp_f64_e32 v[28:29], v[20:21]
	v_div_scale_f64 v[30:31], vcc, v[18:19], v[14:15], v[18:19]
	v_fma_f64 v[32:33], -v[20:21], v[28:29], 1.0
	v_fmac_f64_e32 v[28:29], v[28:29], v[32:33]
	v_fma_f64 v[32:33], -v[20:21], v[28:29], 1.0
	v_fmac_f64_e32 v[28:29], v[28:29], v[32:33]
	v_mul_f64 v[32:33], v[30:31], v[28:29]
	v_fma_f64 v[20:21], -v[20:21], v[32:33], v[30:31]
	v_div_fmas_f64 v[20:21], v[20:21], v[28:29], v[32:33]
	v_div_fixup_f64 v[14:15], v[20:21], v[14:15], v[18:19]
	v_add_f64 v[24:25], v[24:25], v[14:15]
.LBB4_30:
	s_or_b64 exec, exec, s[22:23]
.LBB4_31:
	s_or_b64 exec, exec, s[12:13]
	s_load_dwordx2 s[12:13], s[4:5], 0x28
	v_cmp_lt_i32_e32 vcc, -1, v49
	s_and_saveexec_b64 s[14:15], vcc
	s_cbranch_execz .LBB4_63
; %bb.32:
	v_cmp_lt_i32_e32 vcc, 0, v46
	s_and_saveexec_b64 s[22:23], vcc
	s_cbranch_execnz .LBB4_51
; %bb.33:
	s_or_b64 exec, exec, s[22:23]
	s_and_saveexec_b64 s[22:23], s[0:1]
	s_cbranch_execnz .LBB4_56
.LBB4_34:
	s_or_b64 exec, exec, s[22:23]
	s_and_saveexec_b64 s[22:23], s[2:3]
	s_cbranch_execnz .LBB4_57
	s_branch .LBB4_62
.LBB4_35:
	v_cmp_eq_u32_e32 vcc, v48, v4
                                        ; implicit-def: $vgpr20_vgpr21
	s_and_saveexec_b64 s[22:23], vcc
; %bb.36:
	v_mov_b32_e32 v4, s19
	v_add_co_u32_e32 v20, vcc, s18, v28
	s_mov_b64 s[12:13], exec
	v_addc_co_u32_e32 v21, vcc, v4, v29, vcc
; %bb.37:
	s_or_b64 exec, exec, s[22:23]
	s_and_b64 s[12:13], s[12:13], exec
                                        ; implicit-def: $vgpr4
	s_andn2_saveexec_b64 s[14:15], s[14:15]
	s_cbranch_execz .LBB4_23
.LBB4_38:
	v_sub_u32_e32 v20, 0, v4
	v_mov_b32_e32 v21, 0
	v_lshlrev_b64 v[20:21], 2, v[20:21]
	v_sub_u32_e32 v28, 1, v4
	v_mov_b32_e32 v31, s7
	v_add_co_u32_e32 v20, vcc, s6, v20
	v_ashrrev_i32_e32 v29, 31, v28
	v_addc_co_u32_e32 v21, vcc, v31, v21, vcc
	v_lshlrev_b64 v[28:29], 2, v[28:29]
	v_add_co_u32_e32 v30, vcc, s6, v28
	v_addc_co_u32_e32 v31, vcc, v31, v29, vcc
	global_load_dword v28, v[20:21], off
	global_load_dword v4, v[30:31], off
	s_mov_b64 s[24:25], s[12:13]
                                        ; implicit-def: $vgpr20_vgpr21
	s_waitcnt vmcnt(0)
	v_cmp_lt_i32_e32 vcc, v28, v4
	s_and_saveexec_b64 s[22:23], vcc
	s_cbranch_execz .LBB4_210
; %bb.39:
	v_ashrrev_i32_e32 v29, 31, v28
	v_lshlrev_b64 v[20:21], 2, v[28:29]
	v_mov_b32_e32 v30, s17
	v_add_co_u32_e32 v20, vcc, s16, v20
	v_addc_co_u32_e32 v21, vcc, v30, v21, vcc
	s_mov_b64 s[26:27], 0
                                        ; implicit-def: $sgpr24_sgpr25
                                        ; implicit-def: $sgpr30_sgpr31
                                        ; implicit-def: $sgpr28_sgpr29
	s_branch .LBB4_41
.LBB4_40:                               ;   in Loop: Header=BB4_41 Depth=1
	s_or_b64 exec, exec, s[34:35]
	s_and_b64 s[34:35], exec, s[30:31]
	s_or_b64 s[26:27], s[34:35], s[26:27]
	s_andn2_b64 s[24:25], s[24:25], exec
	s_and_b64 s[34:35], s[28:29], exec
	s_or_b64 s[24:25], s[24:25], s[34:35]
	s_andn2_b64 exec, exec, s[26:27]
	s_cbranch_execz .LBB4_207
.LBB4_41:                               ; =>This Inner Loop Header: Depth=1
	global_load_dword v32, v[20:21], off
	v_pk_mov_b32 v[30:31], v[28:29], v[28:29] op_sel:[0,1]
	s_or_b64 s[28:29], s[28:29], exec
	s_or_b64 s[30:31], s[30:31], exec
                                        ; implicit-def: $vgpr28_vgpr29
	s_waitcnt vmcnt(0)
	v_cmp_ne_u32_e32 vcc, v32, v38
	s_and_saveexec_b64 s[34:35], vcc
	s_cbranch_execz .LBB4_40
; %bb.42:                               ;   in Loop: Header=BB4_41 Depth=1
	v_add_co_u32_e32 v28, vcc, 1, v30
	v_addc_co_u32_e32 v29, vcc, 0, v31, vcc
	v_add_co_u32_e32 v20, vcc, 4, v20
	v_addc_co_u32_e32 v21, vcc, 0, v21, vcc
	v_cmp_ge_i32_e32 vcc, v28, v4
	s_andn2_b64 s[30:31], s[30:31], exec
	s_and_b64 s[36:37], vcc, exec
	s_andn2_b64 s[28:29], s[28:29], exec
	s_or_b64 s[30:31], s[30:31], s[36:37]
	s_branch .LBB4_40
.LBB4_43:
	v_cmp_eq_u32_e32 vcc, v48, v4
                                        ; implicit-def: $vgpr18_vgpr19
	s_and_saveexec_b64 s[24:25], vcc
; %bb.44:
	v_lshlrev_b64 v[18:19], 3, v[20:21]
	v_mov_b32_e32 v4, s19
	v_add_co_u32_e32 v18, vcc, s18, v18
	v_addc_co_u32_e32 v4, vcc, v4, v19, vcc
	v_add_co_u32_e32 v18, vcc, 8, v18
	s_mov_b64 s[14:15], exec
	v_addc_co_u32_e32 v19, vcc, 0, v4, vcc
; %bb.45:
	s_or_b64 exec, exec, s[24:25]
	s_and_b64 s[14:15], s[14:15], exec
                                        ; implicit-def: $vgpr4
	s_andn2_saveexec_b64 s[22:23], s[22:23]
	s_cbranch_execz .LBB4_28
.LBB4_46:
	v_sub_u32_e32 v18, 0, v4
	v_mov_b32_e32 v19, 0
	v_lshlrev_b64 v[18:19], 2, v[18:19]
	v_sub_u32_e32 v20, 1, v4
	v_mov_b32_e32 v29, s7
	v_add_co_u32_e32 v18, vcc, s6, v18
	v_ashrrev_i32_e32 v21, 31, v20
	v_addc_co_u32_e32 v19, vcc, v29, v19, vcc
	v_lshlrev_b64 v[20:21], 2, v[20:21]
	v_add_co_u32_e32 v28, vcc, s6, v20
	v_addc_co_u32_e32 v29, vcc, v29, v21, vcc
	global_load_dword v20, v[18:19], off
	global_load_dword v4, v[28:29], off
	s_mov_b64 s[26:27], s[14:15]
                                        ; implicit-def: $vgpr18_vgpr19
	s_waitcnt vmcnt(0)
	v_cmp_lt_i32_e32 vcc, v20, v4
	s_and_saveexec_b64 s[24:25], vcc
	s_cbranch_execz .LBB4_214
; %bb.47:
	v_ashrrev_i32_e32 v21, 31, v20
	v_lshlrev_b64 v[18:19], 2, v[20:21]
	v_mov_b32_e32 v28, s17
	v_add_co_u32_e32 v18, vcc, s16, v18
	v_addc_co_u32_e32 v19, vcc, v28, v19, vcc
	s_mov_b64 s[28:29], 0
                                        ; implicit-def: $sgpr26_sgpr27
                                        ; implicit-def: $sgpr34_sgpr35
                                        ; implicit-def: $sgpr30_sgpr31
	s_branch .LBB4_49
.LBB4_48:                               ;   in Loop: Header=BB4_49 Depth=1
	s_or_b64 exec, exec, s[36:37]
	s_and_b64 s[36:37], exec, s[34:35]
	s_or_b64 s[28:29], s[36:37], s[28:29]
	s_andn2_b64 s[26:27], s[26:27], exec
	s_and_b64 s[36:37], s[30:31], exec
	s_or_b64 s[26:27], s[26:27], s[36:37]
	s_andn2_b64 exec, exec, s[28:29]
	s_cbranch_execz .LBB4_211
.LBB4_49:                               ; =>This Inner Loop Header: Depth=1
	global_load_dword v30, v[18:19], off
	v_pk_mov_b32 v[28:29], v[20:21], v[20:21] op_sel:[0,1]
	s_or_b64 s[30:31], s[30:31], exec
	s_or_b64 s[34:35], s[34:35], exec
                                        ; implicit-def: $vgpr20_vgpr21
	s_waitcnt vmcnt(0)
	v_cmp_ne_u32_e32 vcc, v30, v38
	s_and_saveexec_b64 s[36:37], vcc
	s_cbranch_execz .LBB4_48
; %bb.50:                               ;   in Loop: Header=BB4_49 Depth=1
	v_add_co_u32_e32 v20, vcc, 1, v28
	v_addc_co_u32_e32 v21, vcc, 0, v29, vcc
	v_add_co_u32_e32 v18, vcc, 4, v18
	v_addc_co_u32_e32 v19, vcc, 0, v19, vcc
	v_cmp_ge_i32_e32 vcc, v20, v4
	s_andn2_b64 s[34:35], s[34:35], exec
	s_and_b64 s[38:39], vcc, exec
	s_andn2_b64 s[30:31], s[30:31], exec
	s_or_b64 s[34:35], s[34:35], s[38:39]
	s_branch .LBB4_48
.LBB4_51:
	v_add_u32_e32 v18, v39, v52
	v_mov_b32_e32 v19, 0
	v_lshlrev_b64 v[14:15], 2, v[18:19]
	v_mov_b32_e32 v4, s9
	v_add_co_u32_e32 v14, vcc, s8, v14
	v_addc_co_u32_e32 v15, vcc, v4, v15, vcc
	global_load_dword v4, v[14:15], off
	s_mov_b64 s[24:25], 0
                                        ; implicit-def: $vgpr14_vgpr15
	s_waitcnt vmcnt(0)
	v_cmp_lt_i32_e32 vcc, 0, v4
	s_and_saveexec_b64 s[26:27], vcc
	s_xor_b64 s[26:27], exec, s[26:27]
	s_cbranch_execnz .LBB4_215
; %bb.52:
	s_andn2_saveexec_b64 s[26:27], s[26:27]
	s_cbranch_execnz .LBB4_218
.LBB4_53:
	s_or_b64 exec, exec, s[26:27]
	s_and_saveexec_b64 s[26:27], s[24:25]
	s_cbranch_execz .LBB4_55
.LBB4_54:
	global_load_dwordx2 v[14:15], v[14:15], off
	v_add_u32_e32 v5, 1, v5
	s_waitcnt vmcnt(0)
	v_div_scale_f64 v[18:19], s[24:25], v[12:13], v[12:13], v[14:15]
	v_rcp_f64_e32 v[20:21], v[18:19]
	v_div_scale_f64 v[28:29], vcc, v[14:15], v[12:13], v[14:15]
	v_fma_f64 v[30:31], -v[18:19], v[20:21], 1.0
	v_fmac_f64_e32 v[20:21], v[20:21], v[30:31]
	v_fma_f64 v[30:31], -v[18:19], v[20:21], 1.0
	v_fmac_f64_e32 v[20:21], v[20:21], v[30:31]
	v_mul_f64 v[30:31], v[28:29], v[20:21]
	v_fma_f64 v[18:19], -v[18:19], v[30:31], v[28:29]
	v_div_fmas_f64 v[18:19], v[18:19], v[20:21], v[30:31]
	v_div_fixup_f64 v[12:13], v[18:19], v[12:13], v[14:15]
	v_add_f64 v[24:25], v[24:25], v[12:13]
.LBB4_55:
	s_or_b64 exec, exec, s[26:27]
	s_or_b64 exec, exec, s[22:23]
	s_and_saveexec_b64 s[22:23], s[0:1]
	s_cbranch_execz .LBB4_34
.LBB4_56:
	v_mov_b32_e32 v4, s19
	v_add_co_u32_e32 v12, vcc, s18, v16
	v_addc_co_u32_e32 v13, vcc, v4, v17, vcc
	global_load_dwordx2 v[12:13], v[12:13], off
	v_add_u32_e32 v5, 1, v5
	s_waitcnt vmcnt(0)
	v_div_scale_f64 v[14:15], s[24:25], v[10:11], v[10:11], v[12:13]
	v_rcp_f64_e32 v[18:19], v[14:15]
	v_div_scale_f64 v[20:21], vcc, v[12:13], v[10:11], v[12:13]
	v_fma_f64 v[28:29], -v[14:15], v[18:19], 1.0
	v_fmac_f64_e32 v[18:19], v[18:19], v[28:29]
	v_fma_f64 v[28:29], -v[14:15], v[18:19], 1.0
	v_fmac_f64_e32 v[18:19], v[18:19], v[28:29]
	v_mul_f64 v[28:29], v[20:21], v[18:19]
	v_fma_f64 v[14:15], -v[14:15], v[28:29], v[20:21]
	v_div_fmas_f64 v[14:15], v[14:15], v[18:19], v[28:29]
	v_div_fixup_f64 v[10:11], v[14:15], v[10:11], v[12:13]
	v_add_f64 v[24:25], v[24:25], v[10:11]
	s_or_b64 exec, exec, s[22:23]
	s_and_saveexec_b64 s[22:23], s[2:3]
	s_cbranch_execz .LBB4_62
.LBB4_57:
	v_add_co_u32_e32 v12, vcc, v46, v52
	v_addc_co_u32_e64 v13, s[24:25], 0, 0, vcc
	v_lshlrev_b64 v[10:11], 2, v[12:13]
	v_mov_b32_e32 v4, s9
	v_add_co_u32_e32 v10, vcc, s8, v10
	v_addc_co_u32_e32 v11, vcc, v4, v11, vcc
	global_load_dword v4, v[10:11], off offset:4
	s_mov_b64 s[24:25], 0
                                        ; implicit-def: $vgpr10_vgpr11
	s_waitcnt vmcnt(0)
	v_cmp_lt_i32_e32 vcc, 0, v4
	s_and_saveexec_b64 s[26:27], vcc
	s_xor_b64 s[26:27], exec, s[26:27]
	s_cbranch_execnz .LBB4_223
; %bb.58:
	s_andn2_saveexec_b64 s[26:27], s[26:27]
	s_cbranch_execnz .LBB4_226
.LBB4_59:
	s_or_b64 exec, exec, s[26:27]
	s_and_saveexec_b64 s[26:27], s[24:25]
	s_cbranch_execz .LBB4_61
.LBB4_60:
	global_load_dwordx2 v[10:11], v[10:11], off
	v_add_u32_e32 v5, 1, v5
	s_waitcnt vmcnt(0)
	v_div_scale_f64 v[12:13], s[24:25], v[8:9], v[8:9], v[10:11]
	v_rcp_f64_e32 v[14:15], v[12:13]
	v_div_scale_f64 v[18:19], vcc, v[10:11], v[8:9], v[10:11]
	v_fma_f64 v[20:21], -v[12:13], v[14:15], 1.0
	v_fmac_f64_e32 v[14:15], v[14:15], v[20:21]
	v_fma_f64 v[20:21], -v[12:13], v[14:15], 1.0
	v_fmac_f64_e32 v[14:15], v[14:15], v[20:21]
	v_mul_f64 v[20:21], v[18:19], v[14:15]
	v_fma_f64 v[12:13], -v[12:13], v[20:21], v[18:19]
	v_div_fmas_f64 v[12:13], v[12:13], v[14:15], v[20:21]
	v_div_fixup_f64 v[8:9], v[12:13], v[8:9], v[10:11]
	v_add_f64 v[24:25], v[24:25], v[8:9]
.LBB4_61:
	s_or_b64 exec, exec, s[26:27]
.LBB4_62:
	s_or_b64 exec, exec, s[22:23]
.LBB4_63:
	s_or_b64 exec, exec, s[14:15]
	v_cmp_lt_i32_e32 vcc, -2, v49
	s_and_saveexec_b64 s[14:15], vcc
	s_cbranch_execz .LBB4_83
; %bb.64:
	v_cmp_lt_i32_e32 vcc, 0, v46
	s_and_saveexec_b64 s[22:23], vcc
	s_cbranch_execnz .LBB4_67
; %bb.65:
	s_or_b64 exec, exec, s[22:23]
	s_and_saveexec_b64 s[22:23], s[0:1]
	s_cbranch_execnz .LBB4_72
.LBB4_66:
	s_or_b64 exec, exec, s[22:23]
	s_and_saveexec_b64 s[0:1], s[2:3]
	s_cbranch_execnz .LBB4_77
	s_branch .LBB4_82
.LBB4_67:
	v_add_u32_e32 v10, v39, v47
	v_mov_b32_e32 v11, 0
	v_lshlrev_b64 v[8:9], 2, v[10:11]
	v_mov_b32_e32 v4, s9
	v_add_co_u32_e32 v8, vcc, s8, v8
	v_addc_co_u32_e32 v9, vcc, v4, v9, vcc
	global_load_dword v4, v[8:9], off
	s_mov_b64 s[24:25], 0
                                        ; implicit-def: $vgpr8_vgpr9
	s_waitcnt vmcnt(0)
	v_cmp_lt_i32_e32 vcc, 0, v4
	s_and_saveexec_b64 s[26:27], vcc
	s_xor_b64 s[26:27], exec, s[26:27]
	s_cbranch_execnz .LBB4_231
; %bb.68:
	s_andn2_saveexec_b64 s[26:27], s[26:27]
	s_cbranch_execnz .LBB4_234
.LBB4_69:
	s_or_b64 exec, exec, s[26:27]
	s_and_saveexec_b64 s[26:27], s[24:25]
	s_cbranch_execz .LBB4_71
.LBB4_70:
	global_load_dwordx2 v[8:9], v[8:9], off
	v_add_u32_e32 v5, 1, v5
	s_waitcnt vmcnt(0)
	v_div_scale_f64 v[10:11], s[24:25], v[6:7], v[6:7], v[8:9]
	v_rcp_f64_e32 v[12:13], v[10:11]
	v_div_scale_f64 v[14:15], vcc, v[8:9], v[6:7], v[8:9]
	v_fma_f64 v[18:19], -v[10:11], v[12:13], 1.0
	v_fmac_f64_e32 v[12:13], v[12:13], v[18:19]
	v_fma_f64 v[18:19], -v[10:11], v[12:13], 1.0
	v_fmac_f64_e32 v[12:13], v[12:13], v[18:19]
	v_mul_f64 v[18:19], v[14:15], v[12:13]
	v_fma_f64 v[10:11], -v[10:11], v[18:19], v[14:15]
	v_div_fmas_f64 v[10:11], v[10:11], v[12:13], v[18:19]
	v_div_fixup_f64 v[6:7], v[10:11], v[6:7], v[8:9]
	v_add_f64 v[24:25], v[24:25], v[6:7]
.LBB4_71:
	s_or_b64 exec, exec, s[26:27]
	s_or_b64 exec, exec, s[22:23]
	s_and_saveexec_b64 s[22:23], s[0:1]
	s_cbranch_execz .LBB4_66
.LBB4_72:
	v_lshlrev_b64 v[6:7], 2, v[26:27]
	v_mov_b32_e32 v4, s9
	v_add_co_u32_e32 v6, vcc, s8, v6
	v_addc_co_u32_e32 v7, vcc, v4, v7, vcc
	global_load_dword v4, v[6:7], off
	s_mov_b64 s[0:1], 0
                                        ; implicit-def: $vgpr6_vgpr7
	s_waitcnt vmcnt(0)
	v_cmp_lt_i32_e32 vcc, 0, v4
	s_and_saveexec_b64 s[24:25], vcc
	s_xor_b64 s[24:25], exec, s[24:25]
	s_cbranch_execnz .LBB4_239
; %bb.73:
	s_andn2_saveexec_b64 s[24:25], s[24:25]
	s_cbranch_execnz .LBB4_242
.LBB4_74:
	s_or_b64 exec, exec, s[24:25]
	s_and_saveexec_b64 s[24:25], s[0:1]
	s_cbranch_execz .LBB4_76
.LBB4_75:
	global_load_dwordx2 v[6:7], v[6:7], off
	v_add_u32_e32 v5, 1, v5
	s_waitcnt vmcnt(0)
	v_div_scale_f64 v[8:9], s[0:1], v[2:3], v[2:3], v[6:7]
	v_rcp_f64_e32 v[10:11], v[8:9]
	v_div_scale_f64 v[12:13], vcc, v[6:7], v[2:3], v[6:7]
	v_fma_f64 v[14:15], -v[8:9], v[10:11], 1.0
	v_fmac_f64_e32 v[10:11], v[10:11], v[14:15]
	v_fma_f64 v[14:15], -v[8:9], v[10:11], 1.0
	v_fmac_f64_e32 v[10:11], v[10:11], v[14:15]
	v_mul_f64 v[14:15], v[12:13], v[10:11]
	v_fma_f64 v[8:9], -v[8:9], v[14:15], v[12:13]
	v_div_fmas_f64 v[8:9], v[8:9], v[10:11], v[14:15]
	v_div_fixup_f64 v[2:3], v[8:9], v[2:3], v[6:7]
	v_add_f64 v[24:25], v[24:25], v[2:3]
.LBB4_76:
	s_or_b64 exec, exec, s[24:25]
	s_or_b64 exec, exec, s[22:23]
	s_and_saveexec_b64 s[0:1], s[2:3]
	s_cbranch_execz .LBB4_82
.LBB4_77:
	v_add_co_u32_e32 v6, vcc, v46, v47
	v_addc_co_u32_e64 v7, s[2:3], 0, 0, vcc
	v_lshlrev_b64 v[2:3], 2, v[6:7]
	v_mov_b32_e32 v4, s9
	v_add_co_u32_e32 v2, vcc, s8, v2
	v_addc_co_u32_e32 v3, vcc, v4, v3, vcc
	global_load_dword v4, v[2:3], off offset:4
	s_mov_b64 s[2:3], 0
                                        ; implicit-def: $vgpr2_vgpr3
	s_waitcnt vmcnt(0)
	v_cmp_lt_i32_e32 vcc, 0, v4
	s_and_saveexec_b64 s[22:23], vcc
	s_xor_b64 s[22:23], exec, s[22:23]
	s_cbranch_execnz .LBB4_247
; %bb.78:
	s_andn2_saveexec_b64 s[22:23], s[22:23]
	s_cbranch_execnz .LBB4_250
.LBB4_79:
	s_or_b64 exec, exec, s[22:23]
	s_and_saveexec_b64 s[22:23], s[2:3]
	s_cbranch_execz .LBB4_81
.LBB4_80:
	global_load_dwordx2 v[2:3], v[2:3], off
	v_add_u32_e32 v5, 1, v5
	s_waitcnt vmcnt(0)
	v_div_scale_f64 v[6:7], s[2:3], v[0:1], v[0:1], v[2:3]
	v_rcp_f64_e32 v[8:9], v[6:7]
	v_div_scale_f64 v[10:11], vcc, v[2:3], v[0:1], v[2:3]
	v_fma_f64 v[12:13], -v[6:7], v[8:9], 1.0
	v_fmac_f64_e32 v[8:9], v[8:9], v[12:13]
	v_fma_f64 v[12:13], -v[6:7], v[8:9], 1.0
	v_fmac_f64_e32 v[8:9], v[8:9], v[12:13]
	v_mul_f64 v[12:13], v[10:11], v[8:9]
	v_fma_f64 v[6:7], -v[6:7], v[12:13], v[10:11]
	v_div_fmas_f64 v[6:7], v[6:7], v[8:9], v[12:13]
	v_div_fixup_f64 v[0:1], v[6:7], v[0:1], v[2:3]
	v_add_f64 v[24:25], v[24:25], v[0:1]
.LBB4_81:
	s_or_b64 exec, exec, s[22:23]
.LBB4_82:
	s_or_b64 exec, exec, s[0:1]
.LBB4_83:
	s_or_b64 exec, exec, s[14:15]
	v_cvt_f64_i32_e32 v[0:1], v5
	v_div_scale_f64 v[2:3], s[0:1], v[0:1], v[0:1], v[24:25]
	v_rcp_f64_e32 v[4:5], v[2:3]
	v_div_scale_f64 v[6:7], vcc, v[24:25], v[0:1], v[24:25]
                                        ; implicit-def: $vgpr20_vgpr21
                                        ; implicit-def: $vgpr18_vgpr19
                                        ; implicit-def: $vgpr14_vgpr15
                                        ; implicit-def: $vgpr12_vgpr13
                                        ; implicit-def: $vgpr10_vgpr11
                                        ; implicit-def: $vgpr38_vgpr39
                                        ; implicit-def: $vgpr48
                                        ; implicit-def: $vgpr36_vgpr37
                                        ; implicit-def: $vgpr30_vgpr31
                                        ; implicit-def: $vgpr28_vgpr29
                                        ; implicit-def: $vgpr32_vgpr33
                                        ; implicit-def: $vgpr40_vgpr41
                                        ; implicit-def: $vgpr34_vgpr35
                                        ; implicit-def: $vgpr50_vgpr51
                                        ; implicit-def: $vgpr26_vgpr27
                                        ; implicit-def: $vgpr22_vgpr23
	v_fma_f64 v[8:9], -v[2:3], v[4:5], 1.0
	v_fmac_f64_e32 v[4:5], v[4:5], v[8:9]
	v_fma_f64 v[8:9], -v[2:3], v[4:5], 1.0
	v_fmac_f64_e32 v[4:5], v[4:5], v[8:9]
	v_mul_f64 v[8:9], v[6:7], v[4:5]
	v_fma_f64 v[2:3], -v[2:3], v[8:9], v[6:7]
	v_div_fmas_f64 v[2:3], v[2:3], v[4:5], v[8:9]
	v_div_fixup_f64 v[0:1], v[2:3], v[0:1], v[24:25]
	s_waitcnt lgkmcnt(0)
	v_mov_b32_e32 v3, s13
	v_add_co_u32_e32 v2, vcc, s12, v16
	v_addc_co_u32_e32 v3, vcc, v3, v17, vcc
	global_store_dwordx2 v[2:3], v[0:1], off
                                        ; implicit-def: $vgpr8_vgpr9
                                        ; implicit-def: $vgpr6_vgpr7
                                        ; implicit-def: $vgpr2_vgpr3
                                        ; implicit-def: $vgpr0_vgpr1
                                        ; implicit-def: $vgpr16_vgpr17
                                        ; implicit-def: $vgpr24_vgpr25
.LBB4_84:
	s_andn2_saveexec_b64 s[0:1], s[10:11]
	s_cbranch_execz .LBB4_206
; %bb.85:
	v_sub_u32_e32 v60, 0, v48
	v_mov_b32_e32 v61, 0
	v_lshlrev_b64 v[4:5], 2, v[60:61]
	v_mov_b32_e32 v45, s7
	v_add_co_u32_e32 v42, vcc, s6, v4
	v_sub_u32_e32 v4, 1, v48
	v_addc_co_u32_e32 v43, vcc, v45, v5, vcc
	v_ashrrev_i32_e32 v5, 31, v4
	v_lshlrev_b64 v[4:5], 2, v[4:5]
	v_add_co_u32_e32 v44, vcc, s6, v4
	v_addc_co_u32_e32 v45, vcc, v45, v5, vcc
	global_load_dword v4, v[42:43], off
	global_load_dword v80, v[44:45], off
	s_waitcnt vmcnt(0)
	v_cmp_lt_i32_e32 vcc, v4, v80
	s_and_b64 exec, exec, vcc
	s_cbranch_execz .LBB4_206
; %bb.86:
	v_lshlrev_b64 v[36:37], 2, v[36:37]
	v_mov_b32_e32 v5, s9
	v_add_co_u32_e32 v36, vcc, s8, v36
	v_addc_co_u32_e32 v37, vcc, v5, v37, vcc
	global_load_dword v36, v[36:37], off
	v_lshlrev_b64 v[30:31], 2, v[30:31]
	global_load_dword v72, v[38:39], off offset:4
	v_add_co_u32_e32 v30, vcc, s8, v30
	v_addc_co_u32_e32 v31, vcc, v5, v31, vcc
	global_load_dwordx2 v[30:31], v[30:31], off
	v_lshlrev_b64 v[32:33], 2, v[32:33]
	v_add_co_u32_e32 v32, vcc, s8, v32
	v_addc_co_u32_e32 v33, vcc, v5, v33, vcc
	global_load_dword v70, v[32:33], off
	v_mov_b32_e32 v71, s19
	v_add_co_u32_e32 v24, vcc, s18, v24
	v_addc_co_u32_e32 v25, vcc, v71, v25, vcc
	v_lshlrev_b64 v[32:33], 2, v[34:35]
	v_lshlrev_b64 v[34:35], 2, v[26:27]
	v_add_co_u32_e32 v26, vcc, s18, v28
	v_addc_co_u32_e32 v27, vcc, v71, v29, vcc
	v_add_co_u32_e32 v28, vcc, s8, v32
	v_addc_co_u32_e32 v29, vcc, v5, v33, vcc
	;; [unrolled: 2-line block ×3, first 2 shown]
	global_load_dword v73, v[28:29], off
	global_load_dwordx2 v[68:69], v[32:33], off
	v_mov_b32_e32 v64, s7
	s_load_dwordx2 s[22:23], s[4:5], 0x30
	v_ashrrev_i32_e32 v5, 31, v4
	v_mov_b32_e32 v66, s17
	s_waitcnt vmcnt(5)
	v_sub_u32_e32 v60, 0, v36
	v_sub_u32_e32 v32, 1, v36
	v_lshlrev_b64 v[28:29], 2, v[60:61]
	v_ashrrev_i32_e32 v33, 31, v32
	v_add_co_u32_e32 v28, vcc, s6, v28
	v_addc_co_u32_e32 v29, vcc, v64, v29, vcc
	v_lshlrev_b64 v[32:33], 2, v[32:33]
	s_waitcnt vmcnt(3)
	v_cmp_lt_i32_e64 s[2:3], 0, v30
	v_add_u32_e32 v82, -1, v30
	v_sub_u32_e32 v34, 1, v30
	v_sub_u32_e32 v60, 0, v30
	v_add_co_u32_e32 v30, vcc, s6, v32
	v_cmp_lt_i32_e64 s[0:1], 0, v36
	v_add_u32_e32 v81, -1, v36
	v_cmp_lt_i32_e64 s[4:5], 0, v31
	v_add_u32_e32 v83, -1, v31
	v_sub_u32_e32 v36, 1, v31
	v_lshlrev_b64 v[38:39], 2, v[60:61]
	v_sub_u32_e32 v60, 0, v31
	v_addc_co_u32_e32 v31, vcc, v64, v33, vcc
	v_ashrrev_i32_e32 v35, 31, v34
	v_add_co_u32_e32 v32, vcc, s6, v38
	v_lshlrev_b64 v[34:35], 2, v[34:35]
	v_addc_co_u32_e32 v33, vcc, v64, v39, vcc
	v_ashrrev_i32_e32 v37, 31, v36
	v_add_co_u32_e32 v34, vcc, s6, v34
	v_lshlrev_b64 v[42:43], 2, v[36:37]
	v_addc_co_u32_e32 v35, vcc, v64, v35, vcc
	v_lshlrev_b64 v[36:37], 2, v[60:61]
	v_add_co_u32_e32 v36, vcc, s6, v36
	v_addc_co_u32_e32 v37, vcc, v64, v37, vcc
	v_add_co_u32_e32 v38, vcc, s6, v42
	v_addc_co_u32_e32 v39, vcc, v64, v43, vcc
	v_add_co_u32_e32 v40, vcc, s18, v40
	s_waitcnt vmcnt(2)
	v_sub_u32_e32 v60, 0, v70
	v_addc_co_u32_e32 v41, vcc, v71, v41, vcc
	v_lshlrev_b64 v[42:43], 2, v[60:61]
	v_sub_u32_e32 v44, 1, v70
	v_add_co_u32_e32 v42, vcc, s6, v42
	v_ashrrev_i32_e32 v45, 31, v44
	v_addc_co_u32_e32 v43, vcc, v64, v43, vcc
	v_lshlrev_b64 v[44:45], 2, v[44:45]
	v_add_co_u32_e32 v44, vcc, s6, v44
	v_sub_u32_e32 v60, 0, v72
	v_addc_co_u32_e32 v45, vcc, v64, v45, vcc
	v_lshlrev_b64 v[46:47], 2, v[60:61]
	v_sub_u32_e32 v48, 1, v72
	v_add_co_u32_e32 v46, vcc, s6, v46
	v_ashrrev_i32_e32 v49, 31, v48
	v_addc_co_u32_e32 v47, vcc, v64, v47, vcc
	v_lshlrev_b64 v[48:49], 2, v[48:49]
	v_add_co_u32_e32 v48, vcc, s6, v48
	v_addc_co_u32_e32 v49, vcc, v64, v49, vcc
	v_add_co_u32_e32 v50, vcc, s18, v50
	s_waitcnt vmcnt(1)
	v_sub_u32_e32 v60, 0, v73
	v_addc_co_u32_e32 v51, vcc, v71, v51, vcc
	v_lshlrev_b64 v[52:53], 2, v[60:61]
	v_sub_u32_e32 v54, 1, v73
	v_add_co_u32_e32 v52, vcc, s6, v52
	v_ashrrev_i32_e32 v55, 31, v54
	v_addc_co_u32_e32 v53, vcc, v64, v53, vcc
	v_lshlrev_b64 v[54:55], 2, v[54:55]
	v_add_co_u32_e32 v54, vcc, s6, v54
	v_addc_co_u32_e32 v55, vcc, v64, v55, vcc
	v_add_co_u32_e32 v22, vcc, s18, v22
	s_waitcnt vmcnt(0)
	v_sub_u32_e32 v60, 0, v68
	v_addc_co_u32_e32 v23, vcc, v71, v23, vcc
	v_lshlrev_b64 v[56:57], 2, v[60:61]
	v_sub_u32_e32 v58, 1, v68
	v_add_co_u32_e32 v56, vcc, s6, v56
	v_ashrrev_i32_e32 v59, 31, v58
	v_addc_co_u32_e32 v57, vcc, v64, v57, vcc
	v_lshlrev_b64 v[58:59], 2, v[58:59]
	v_add_co_u32_e32 v58, vcc, s6, v58
	v_sub_u32_e32 v60, 0, v69
	v_addc_co_u32_e32 v59, vcc, v64, v59, vcc
	v_lshlrev_b64 v[60:61], 2, v[60:61]
	v_sub_u32_e32 v62, 1, v69
	v_add_co_u32_e32 v60, vcc, s6, v60
	v_ashrrev_i32_e32 v63, 31, v62
	v_addc_co_u32_e32 v61, vcc, v64, v61, vcc
	v_lshlrev_b64 v[62:63], 2, v[62:63]
	v_add_co_u32_e32 v62, vcc, s6, v62
	v_addc_co_u32_e32 v63, vcc, v64, v63, vcc
	v_lshlrev_b64 v[64:65], 2, v[4:5]
	v_add_co_u32_e32 v64, vcc, s16, v64
	v_addc_co_u32_e32 v65, vcc, v66, v65, vcc
	v_add_co_u32_e32 v66, vcc, 8, v26
	v_addc_co_u32_e32 v67, vcc, 0, v27, vcc
	;; [unrolled: 2-line block ×4, first 2 shown]
	v_cmp_lt_i32_e64 s[12:13], 0, v68
	v_add_u32_e32 v87, -1, v68
	v_add_co_u32_e32 v68, vcc, 8, v22
	v_cmp_lt_i32_e64 s[6:7], 0, v70
	v_add_u32_e32 v84, -1, v70
	v_cmp_lt_i32_e64 s[8:9], 0, v72
	v_add_u32_e32 v85, -1, v72
	;; [unrolled: 2-line block ×4, first 2 shown]
	v_addc_co_u32_e32 v69, vcc, 0, v23, vcc
	s_mov_b64 s[18:19], 0
	v_pk_mov_b32 v[70:71], v[4:5], v[4:5] op_sel:[0,1]
	s_branch .LBB4_88
.LBB4_87:                               ;   in Loop: Header=BB4_88 Depth=1
	s_or_b64 exec, exec, s[26:27]
	v_cvt_f64_i32_e32 v[74:75], v90
	v_div_scale_f64 v[76:77], s[24:25], v[74:75], v[74:75], v[72:73]
	v_rcp_f64_e32 v[78:79], v[76:77]
	v_div_scale_f64 v[90:91], vcc, v[72:73], v[74:75], v[72:73]
	v_fma_f64 v[92:93], -v[76:77], v[78:79], 1.0
	v_fmac_f64_e32 v[78:79], v[78:79], v[92:93]
	v_fma_f64 v[92:93], -v[76:77], v[78:79], 1.0
	v_fmac_f64_e32 v[78:79], v[78:79], v[92:93]
	v_mul_f64 v[92:93], v[90:91], v[78:79]
	v_fma_f64 v[76:77], -v[76:77], v[92:93], v[90:91]
	v_div_fmas_f64 v[76:77], v[76:77], v[78:79], v[92:93]
	v_div_fixup_f64 v[72:73], v[76:77], v[74:75], v[72:73]
	v_lshlrev_b64 v[74:75], 3, v[4:5]
	s_waitcnt lgkmcnt(0)
	v_mov_b32_e32 v5, s23
	v_add_co_u32_e32 v74, vcc, s22, v74
	v_addc_co_u32_e32 v75, vcc, v5, v75, vcc
	v_add_u32_e32 v4, 1, v4
	v_cmp_ge_i32_e32 vcc, v4, v80
	s_or_b64 s[18:19], vcc, s[18:19]
	global_store_dwordx2 v[74:75], v[72:73], off
	s_andn2_b64 exec, exec, s[18:19]
	s_cbranch_execz .LBB4_206
.LBB4_88:                               ; =>This Loop Header: Depth=1
                                        ;     Child Loop BB4_94 Depth 2
                                        ;     Child Loop BB4_139 Depth 2
	;; [unrolled: 1-line block ×9, first 2 shown]
	v_ashrrev_i32_e32 v5, 31, v4
	v_lshlrev_b64 v[72:73], 2, v[4:5]
	v_mov_b32_e32 v74, s17
	v_add_co_u32_e32 v72, vcc, s16, v72
	v_addc_co_u32_e32 v73, vcc, v74, v73, vcc
	global_load_dword v89, v[72:73], off
	s_mov_b64 s[24:25], 0
                                        ; implicit-def: $sgpr28_sgpr29
                                        ; implicit-def: $sgpr30
	s_and_saveexec_b64 s[26:27], s[0:1]
	s_xor_b64 s[26:27], exec, s[26:27]
	s_cbranch_execz .LBB4_90
; %bb.89:                               ;   in Loop: Header=BB4_88 Depth=1
	s_waitcnt vmcnt(0)
	v_cmp_eq_u32_e32 vcc, v89, v81
	s_mov_b32 s30, 0
	s_mov_b64 s[28:29], 0
	s_and_b64 s[24:25], vcc, exec
.LBB4_90:                               ;   in Loop: Header=BB4_88 Depth=1
	s_or_saveexec_b64 s[26:27], s[26:27]
	v_pk_mov_b32 v[72:73], s[28:29], s[28:29] op_sel:[0,1]
	v_mov_b32_e32 v90, s30
	v_pk_mov_b32 v[76:77], v[24:25], v[24:25] op_sel:[0,1]
	s_xor_b64 exec, exec, s[26:27]
	s_cbranch_execz .LBB4_100
; %bb.91:                               ;   in Loop: Header=BB4_88 Depth=1
	global_load_dword v74, v[28:29], off
	global_load_dword v91, v[30:31], off
	v_pk_mov_b32 v[72:73], 0, 0
	v_mov_b32_e32 v90, 0
	s_mov_b64 s[30:31], s[24:25]
                                        ; implicit-def: $vgpr76_vgpr77
	s_waitcnt vmcnt(0)
	v_cmp_lt_i32_e32 vcc, v74, v91
	s_and_saveexec_b64 s[28:29], vcc
	s_cbranch_execz .LBB4_99
; %bb.92:                               ;   in Loop: Header=BB4_88 Depth=1
	v_ashrrev_i32_e32 v75, 31, v74
	v_lshlrev_b64 v[72:73], 2, v[74:75]
	v_mov_b32_e32 v77, s17
	v_add_co_u32_e32 v76, vcc, s16, v72
	v_addc_co_u32_e32 v77, vcc, v77, v73, vcc
	s_mov_b64 s[34:35], 0
                                        ; implicit-def: $sgpr30_sgpr31
                                        ; implicit-def: $sgpr38_sgpr39
                                        ; implicit-def: $sgpr36_sgpr37
	s_branch .LBB4_94
.LBB4_93:                               ;   in Loop: Header=BB4_94 Depth=2
	s_or_b64 exec, exec, s[42:43]
	s_and_b64 s[42:43], exec, s[38:39]
	s_or_b64 s[34:35], s[42:43], s[34:35]
	v_pk_mov_b32 v[72:73], s[40:41], s[40:41] op_sel:[0,1]
	s_andn2_b64 s[30:31], s[30:31], exec
	s_and_b64 s[40:41], s[36:37], exec
	v_mov_b32_e32 v90, s33
	s_or_b64 s[30:31], s[30:31], s[40:41]
	s_andn2_b64 exec, exec, s[34:35]
	s_cbranch_execz .LBB4_96
.LBB4_94:                               ;   Parent Loop BB4_88 Depth=1
                                        ; =>  This Inner Loop Header: Depth=2
	global_load_dword v72, v[76:77], off
	v_pk_mov_b32 v[78:79], v[74:75], v[74:75] op_sel:[0,1]
	s_or_b64 s[36:37], s[36:37], exec
	s_or_b64 s[38:39], s[38:39], exec
                                        ; implicit-def: $vgpr74_vgpr75
                                        ; implicit-def: $sgpr33
                                        ; implicit-def: $sgpr40_sgpr41
	s_waitcnt vmcnt(0)
	v_cmp_ne_u32_e32 vcc, v72, v89
	s_and_saveexec_b64 s[42:43], vcc
	s_cbranch_execz .LBB4_93
; %bb.95:                               ;   in Loop: Header=BB4_94 Depth=2
	v_add_co_u32_e32 v74, vcc, 1, v78
	v_addc_co_u32_e32 v75, vcc, 0, v79, vcc
	v_add_co_u32_e32 v76, vcc, 4, v76
	v_addc_co_u32_e32 v77, vcc, 0, v77, vcc
	v_cmp_ge_i32_e32 vcc, v74, v91
	s_andn2_b64 s[38:39], s[38:39], exec
	s_and_b64 s[44:45], vcc, exec
	s_mov_b64 s[40:41], 0
	s_mov_b32 s33, 0
	s_andn2_b64 s[36:37], s[36:37], exec
	s_or_b64 s[38:39], s[38:39], s[44:45]
	s_branch .LBB4_93
.LBB4_96:                               ;   in Loop: Header=BB4_88 Depth=1
	s_or_b64 exec, exec, s[34:35]
	s_mov_b64 s[34:35], s[24:25]
                                        ; implicit-def: $vgpr76_vgpr77
	s_and_saveexec_b64 s[36:37], s[30:31]
	s_xor_b64 s[30:31], exec, s[36:37]
; %bb.97:                               ;   in Loop: Header=BB4_88 Depth=1
	v_lshlrev_b64 v[74:75], 3, v[78:79]
	v_mov_b32_e32 v77, s21
	v_add_co_u32_e32 v76, vcc, s20, v74
	v_addc_co_u32_e32 v77, vcc, v77, v75, vcc
	s_or_b64 s[34:35], s[24:25], exec
; %bb.98:                               ;   in Loop: Header=BB4_88 Depth=1
	s_or_b64 exec, exec, s[30:31]
	s_andn2_b64 s[30:31], s[24:25], exec
	s_and_b64 s[34:35], s[34:35], exec
	s_or_b64 s[30:31], s[30:31], s[34:35]
.LBB4_99:                               ;   in Loop: Header=BB4_88 Depth=1
	s_or_b64 exec, exec, s[28:29]
	s_andn2_b64 s[24:25], s[24:25], exec
	s_and_b64 s[28:29], s[30:31], exec
	s_or_b64 s[24:25], s[24:25], s[28:29]
.LBB4_100:                              ;   in Loop: Header=BB4_88 Depth=1
	s_or_b64 exec, exec, s[26:27]
	s_and_saveexec_b64 s[26:27], s[24:25]
	s_cbranch_execz .LBB4_102
; %bb.101:                              ;   in Loop: Header=BB4_88 Depth=1
	global_load_dwordx2 v[72:73], v[76:77], off
	s_waitcnt vmcnt(0)
	v_div_scale_f64 v[74:75], s[24:25], v[20:21], v[20:21], v[72:73]
	v_rcp_f64_e32 v[76:77], v[74:75]
	v_div_scale_f64 v[78:79], vcc, v[72:73], v[20:21], v[72:73]
	v_fma_f64 v[90:91], -v[74:75], v[76:77], 1.0
	v_fmac_f64_e32 v[76:77], v[76:77], v[90:91]
	v_fma_f64 v[90:91], -v[74:75], v[76:77], 1.0
	v_fmac_f64_e32 v[76:77], v[76:77], v[90:91]
	v_mul_f64 v[90:91], v[78:79], v[76:77]
	v_fma_f64 v[74:75], -v[74:75], v[90:91], v[78:79]
	v_div_fmas_f64 v[74:75], v[74:75], v[76:77], v[90:91]
	v_div_fixup_f64 v[72:73], v[74:75], v[20:21], v[72:73]
	v_add_f64 v[72:73], v[72:73], 0
	v_mov_b32_e32 v90, 1
.LBB4_102:                              ;   in Loop: Header=BB4_88 Depth=1
	s_or_b64 exec, exec, s[26:27]
	s_mov_b64 s[24:25], 0
	s_and_saveexec_b64 s[26:27], s[2:3]
	s_xor_b64 s[26:27], exec, s[26:27]
	s_cbranch_execnz .LBB4_135
; %bb.103:                              ;   in Loop: Header=BB4_88 Depth=1
	s_or_saveexec_b64 s[26:27], s[26:27]
	v_pk_mov_b32 v[76:77], v[26:27], v[26:27] op_sel:[0,1]
	s_xor_b64 exec, exec, s[26:27]
	s_cbranch_execnz .LBB4_136
.LBB4_104:                              ;   in Loop: Header=BB4_88 Depth=1
	s_or_b64 exec, exec, s[26:27]
	s_and_saveexec_b64 s[26:27], s[24:25]
	s_cbranch_execz .LBB4_106
.LBB4_105:                              ;   in Loop: Header=BB4_88 Depth=1
	global_load_dwordx2 v[74:75], v[76:77], off
	v_add_u32_e32 v90, 1, v90
	s_waitcnt vmcnt(0)
	v_div_scale_f64 v[76:77], s[24:25], v[18:19], v[18:19], v[74:75]
	v_rcp_f64_e32 v[78:79], v[76:77]
	v_div_scale_f64 v[92:93], vcc, v[74:75], v[18:19], v[74:75]
	v_fma_f64 v[94:95], -v[76:77], v[78:79], 1.0
	v_fmac_f64_e32 v[78:79], v[78:79], v[94:95]
	v_fma_f64 v[94:95], -v[76:77], v[78:79], 1.0
	v_fmac_f64_e32 v[78:79], v[78:79], v[94:95]
	v_mul_f64 v[94:95], v[92:93], v[78:79]
	v_fma_f64 v[76:77], -v[76:77], v[94:95], v[92:93]
	v_div_fmas_f64 v[76:77], v[76:77], v[78:79], v[94:95]
	v_div_fixup_f64 v[74:75], v[76:77], v[18:19], v[74:75]
	v_add_f64 v[72:73], v[72:73], v[74:75]
.LBB4_106:                              ;   in Loop: Header=BB4_88 Depth=1
	s_or_b64 exec, exec, s[26:27]
	s_mov_b64 s[24:25], 0
	s_and_saveexec_b64 s[26:27], s[4:5]
	s_xor_b64 s[26:27], exec, s[26:27]
	s_cbranch_execnz .LBB4_141
; %bb.107:                              ;   in Loop: Header=BB4_88 Depth=1
	s_or_saveexec_b64 s[26:27], s[26:27]
	v_pk_mov_b32 v[76:77], v[66:67], v[66:67] op_sel:[0,1]
	s_xor_b64 exec, exec, s[26:27]
	s_cbranch_execnz .LBB4_142
.LBB4_108:                              ;   in Loop: Header=BB4_88 Depth=1
	s_or_b64 exec, exec, s[26:27]
	s_and_saveexec_b64 s[26:27], s[24:25]
	s_cbranch_execz .LBB4_110
.LBB4_109:                              ;   in Loop: Header=BB4_88 Depth=1
	global_load_dwordx2 v[74:75], v[76:77], off
	v_add_u32_e32 v90, 1, v90
	s_waitcnt vmcnt(0)
	v_div_scale_f64 v[76:77], s[24:25], v[14:15], v[14:15], v[74:75]
	v_rcp_f64_e32 v[78:79], v[76:77]
	v_div_scale_f64 v[92:93], vcc, v[74:75], v[14:15], v[74:75]
	v_fma_f64 v[94:95], -v[76:77], v[78:79], 1.0
	v_fmac_f64_e32 v[78:79], v[78:79], v[94:95]
	v_fma_f64 v[94:95], -v[76:77], v[78:79], 1.0
	v_fmac_f64_e32 v[78:79], v[78:79], v[94:95]
	v_mul_f64 v[94:95], v[92:93], v[78:79]
	v_fma_f64 v[76:77], -v[76:77], v[94:95], v[92:93]
	v_div_fmas_f64 v[76:77], v[76:77], v[78:79], v[94:95]
	v_div_fixup_f64 v[74:75], v[76:77], v[14:15], v[74:75]
	v_add_f64 v[72:73], v[72:73], v[74:75]
.LBB4_110:                              ;   in Loop: Header=BB4_88 Depth=1
	s_or_b64 exec, exec, s[26:27]
	s_mov_b64 s[24:25], 0
	s_and_saveexec_b64 s[26:27], s[6:7]
	s_xor_b64 s[26:27], exec, s[26:27]
	s_cbranch_execnz .LBB4_147
; %bb.111:                              ;   in Loop: Header=BB4_88 Depth=1
	s_or_saveexec_b64 s[26:27], s[26:27]
	v_pk_mov_b32 v[76:77], v[40:41], v[40:41] op_sel:[0,1]
	s_xor_b64 exec, exec, s[26:27]
	s_cbranch_execnz .LBB4_148
.LBB4_112:                              ;   in Loop: Header=BB4_88 Depth=1
	s_or_b64 exec, exec, s[26:27]
	s_and_saveexec_b64 s[26:27], s[24:25]
	s_cbranch_execz .LBB4_114
.LBB4_113:                              ;   in Loop: Header=BB4_88 Depth=1
	global_load_dwordx2 v[74:75], v[76:77], off
	v_add_u32_e32 v90, 1, v90
	s_waitcnt vmcnt(0)
	v_div_scale_f64 v[76:77], s[24:25], v[12:13], v[12:13], v[74:75]
	v_rcp_f64_e32 v[78:79], v[76:77]
	v_div_scale_f64 v[92:93], vcc, v[74:75], v[12:13], v[74:75]
	v_fma_f64 v[94:95], -v[76:77], v[78:79], 1.0
	v_fmac_f64_e32 v[78:79], v[78:79], v[94:95]
	v_fma_f64 v[94:95], -v[76:77], v[78:79], 1.0
	v_fmac_f64_e32 v[78:79], v[78:79], v[94:95]
	v_mul_f64 v[94:95], v[92:93], v[78:79]
	v_fma_f64 v[76:77], -v[76:77], v[94:95], v[92:93]
	v_div_fmas_f64 v[76:77], v[76:77], v[78:79], v[94:95]
	v_div_fixup_f64 v[74:75], v[76:77], v[12:13], v[74:75]
	v_add_f64 v[72:73], v[72:73], v[74:75]
.LBB4_114:                              ;   in Loop: Header=BB4_88 Depth=1
	s_or_b64 exec, exec, s[26:27]
	s_mov_b64 s[26:27], 0
	v_pk_mov_b32 v[76:77], v[64:65], v[64:65] op_sel:[0,1]
	v_pk_mov_b32 v[78:79], v[70:71], v[70:71] op_sel:[0,1]
                                        ; implicit-def: $sgpr24_sgpr25
                                        ; implicit-def: $sgpr30_sgpr31
                                        ; implicit-def: $sgpr28_sgpr29
	s_branch .LBB4_116
.LBB4_115:                              ;   in Loop: Header=BB4_116 Depth=2
	s_or_b64 exec, exec, s[34:35]
	s_and_b64 s[34:35], exec, s[30:31]
	s_or_b64 s[26:27], s[34:35], s[26:27]
	s_andn2_b64 s[24:25], s[24:25], exec
	s_and_b64 s[34:35], s[28:29], exec
	s_or_b64 s[24:25], s[24:25], s[34:35]
	s_andn2_b64 exec, exec, s[26:27]
	s_cbranch_execz .LBB4_118
.LBB4_116:                              ;   Parent Loop BB4_88 Depth=1
                                        ; =>  This Inner Loop Header: Depth=2
	global_load_dword v91, v[76:77], off
	v_pk_mov_b32 v[74:75], v[78:79], v[78:79] op_sel:[0,1]
	s_or_b64 s[28:29], s[28:29], exec
	s_or_b64 s[30:31], s[30:31], exec
                                        ; implicit-def: $vgpr78_vgpr79
	s_waitcnt vmcnt(0)
	v_cmp_ne_u32_e32 vcc, v91, v89
	s_and_saveexec_b64 s[34:35], vcc
	s_cbranch_execz .LBB4_115
; %bb.117:                              ;   in Loop: Header=BB4_116 Depth=2
	v_add_co_u32_e32 v78, vcc, 1, v74
	v_addc_co_u32_e32 v79, vcc, 0, v75, vcc
	v_add_co_u32_e32 v76, vcc, 4, v76
	v_addc_co_u32_e32 v77, vcc, 0, v77, vcc
	v_cmp_ge_i32_e32 vcc, v78, v80
	s_andn2_b64 s[30:31], s[30:31], exec
	s_and_b64 s[36:37], vcc, exec
	s_andn2_b64 s[28:29], s[28:29], exec
	s_or_b64 s[30:31], s[30:31], s[36:37]
	s_branch .LBB4_115
.LBB4_118:                              ;   in Loop: Header=BB4_88 Depth=1
	s_or_b64 exec, exec, s[26:27]
	s_and_saveexec_b64 s[26:27], s[24:25]
	s_xor_b64 s[24:25], exec, s[26:27]
	s_cbranch_execz .LBB4_120
; %bb.119:                              ;   in Loop: Header=BB4_88 Depth=1
	v_lshlrev_b64 v[74:75], 3, v[74:75]
	v_mov_b32_e32 v76, s21
	v_add_co_u32_e32 v74, vcc, s20, v74
	v_addc_co_u32_e32 v75, vcc, v76, v75, vcc
	global_load_dwordx2 v[74:75], v[74:75], off
	v_add_u32_e32 v90, 1, v90
	s_waitcnt vmcnt(0)
	v_div_scale_f64 v[76:77], s[26:27], v[10:11], v[10:11], v[74:75]
	v_rcp_f64_e32 v[78:79], v[76:77]
	v_div_scale_f64 v[92:93], vcc, v[74:75], v[10:11], v[74:75]
	v_fma_f64 v[94:95], -v[76:77], v[78:79], 1.0
	v_fmac_f64_e32 v[78:79], v[78:79], v[94:95]
	v_fma_f64 v[94:95], -v[76:77], v[78:79], 1.0
	v_fmac_f64_e32 v[78:79], v[78:79], v[94:95]
	v_mul_f64 v[94:95], v[92:93], v[78:79]
	v_fma_f64 v[76:77], -v[76:77], v[94:95], v[92:93]
	v_div_fmas_f64 v[76:77], v[76:77], v[78:79], v[94:95]
	v_div_fixup_f64 v[74:75], v[76:77], v[10:11], v[74:75]
	v_add_f64 v[72:73], v[72:73], v[74:75]
.LBB4_120:                              ;   in Loop: Header=BB4_88 Depth=1
	s_or_b64 exec, exec, s[24:25]
	s_mov_b64 s[24:25], 0
	s_and_saveexec_b64 s[26:27], s[8:9]
	s_xor_b64 s[26:27], exec, s[26:27]
	s_cbranch_execnz .LBB4_153
; %bb.121:                              ;   in Loop: Header=BB4_88 Depth=1
	s_or_saveexec_b64 s[26:27], s[26:27]
	v_pk_mov_b32 v[76:77], v[16:17], v[16:17] op_sel:[0,1]
	s_xor_b64 exec, exec, s[26:27]
	s_cbranch_execnz .LBB4_154
.LBB4_122:                              ;   in Loop: Header=BB4_88 Depth=1
	s_or_b64 exec, exec, s[26:27]
	s_and_saveexec_b64 s[26:27], s[24:25]
	s_cbranch_execz .LBB4_124
.LBB4_123:                              ;   in Loop: Header=BB4_88 Depth=1
	global_load_dwordx2 v[74:75], v[76:77], off
	v_add_u32_e32 v90, 1, v90
	s_waitcnt vmcnt(0)
	v_div_scale_f64 v[76:77], s[24:25], v[8:9], v[8:9], v[74:75]
	v_rcp_f64_e32 v[78:79], v[76:77]
	v_div_scale_f64 v[92:93], vcc, v[74:75], v[8:9], v[74:75]
	v_fma_f64 v[94:95], -v[76:77], v[78:79], 1.0
	v_fmac_f64_e32 v[78:79], v[78:79], v[94:95]
	v_fma_f64 v[94:95], -v[76:77], v[78:79], 1.0
	v_fmac_f64_e32 v[78:79], v[78:79], v[94:95]
	v_mul_f64 v[94:95], v[92:93], v[78:79]
	v_fma_f64 v[76:77], -v[76:77], v[94:95], v[92:93]
	v_div_fmas_f64 v[76:77], v[76:77], v[78:79], v[94:95]
	v_div_fixup_f64 v[74:75], v[76:77], v[8:9], v[74:75]
	v_add_f64 v[72:73], v[72:73], v[74:75]
.LBB4_124:                              ;   in Loop: Header=BB4_88 Depth=1
	s_or_b64 exec, exec, s[26:27]
	s_mov_b64 s[24:25], 0
	s_and_saveexec_b64 s[26:27], s[10:11]
	s_xor_b64 s[26:27], exec, s[26:27]
	s_cbranch_execnz .LBB4_159
; %bb.125:                              ;   in Loop: Header=BB4_88 Depth=1
	s_or_saveexec_b64 s[26:27], s[26:27]
	v_pk_mov_b32 v[76:77], v[50:51], v[50:51] op_sel:[0,1]
	s_xor_b64 exec, exec, s[26:27]
	s_cbranch_execnz .LBB4_160
.LBB4_126:                              ;   in Loop: Header=BB4_88 Depth=1
	s_or_b64 exec, exec, s[26:27]
	s_and_saveexec_b64 s[26:27], s[24:25]
	s_cbranch_execz .LBB4_128
.LBB4_127:                              ;   in Loop: Header=BB4_88 Depth=1
	global_load_dwordx2 v[74:75], v[76:77], off
	v_add_u32_e32 v90, 1, v90
	s_waitcnt vmcnt(0)
	v_div_scale_f64 v[76:77], s[24:25], v[6:7], v[6:7], v[74:75]
	v_rcp_f64_e32 v[78:79], v[76:77]
	v_div_scale_f64 v[92:93], vcc, v[74:75], v[6:7], v[74:75]
	v_fma_f64 v[94:95], -v[76:77], v[78:79], 1.0
	v_fmac_f64_e32 v[78:79], v[78:79], v[94:95]
	v_fma_f64 v[94:95], -v[76:77], v[78:79], 1.0
	v_fmac_f64_e32 v[78:79], v[78:79], v[94:95]
	v_mul_f64 v[94:95], v[92:93], v[78:79]
	v_fma_f64 v[76:77], -v[76:77], v[94:95], v[92:93]
	v_div_fmas_f64 v[76:77], v[76:77], v[78:79], v[94:95]
	v_div_fixup_f64 v[74:75], v[76:77], v[6:7], v[74:75]
	v_add_f64 v[72:73], v[72:73], v[74:75]
.LBB4_128:                              ;   in Loop: Header=BB4_88 Depth=1
	s_or_b64 exec, exec, s[26:27]
	s_mov_b64 s[24:25], 0
	s_and_saveexec_b64 s[26:27], s[12:13]
	s_xor_b64 s[26:27], exec, s[26:27]
	s_cbranch_execnz .LBB4_165
; %bb.129:                              ;   in Loop: Header=BB4_88 Depth=1
	s_or_saveexec_b64 s[26:27], s[26:27]
	v_pk_mov_b32 v[76:77], v[22:23], v[22:23] op_sel:[0,1]
	s_xor_b64 exec, exec, s[26:27]
	s_cbranch_execnz .LBB4_166
.LBB4_130:                              ;   in Loop: Header=BB4_88 Depth=1
	s_or_b64 exec, exec, s[26:27]
	s_and_saveexec_b64 s[26:27], s[24:25]
	s_cbranch_execz .LBB4_132
.LBB4_131:                              ;   in Loop: Header=BB4_88 Depth=1
	global_load_dwordx2 v[74:75], v[76:77], off
	v_add_u32_e32 v90, 1, v90
	s_waitcnt vmcnt(0)
	v_div_scale_f64 v[76:77], s[24:25], v[2:3], v[2:3], v[74:75]
	v_rcp_f64_e32 v[78:79], v[76:77]
	v_div_scale_f64 v[92:93], vcc, v[74:75], v[2:3], v[74:75]
	v_fma_f64 v[94:95], -v[76:77], v[78:79], 1.0
	v_fmac_f64_e32 v[78:79], v[78:79], v[94:95]
	v_fma_f64 v[94:95], -v[76:77], v[78:79], 1.0
	v_fmac_f64_e32 v[78:79], v[78:79], v[94:95]
	v_mul_f64 v[94:95], v[92:93], v[78:79]
	v_fma_f64 v[76:77], -v[76:77], v[94:95], v[92:93]
	v_div_fmas_f64 v[76:77], v[76:77], v[78:79], v[94:95]
	v_div_fixup_f64 v[74:75], v[76:77], v[2:3], v[74:75]
	v_add_f64 v[72:73], v[72:73], v[74:75]
.LBB4_132:                              ;   in Loop: Header=BB4_88 Depth=1
	s_or_b64 exec, exec, s[26:27]
	s_mov_b64 s[24:25], 0
	s_and_saveexec_b64 s[26:27], s[14:15]
	s_xor_b64 s[26:27], exec, s[26:27]
	s_cbranch_execnz .LBB4_171
; %bb.133:                              ;   in Loop: Header=BB4_88 Depth=1
	s_or_saveexec_b64 s[26:27], s[26:27]
	v_pk_mov_b32 v[76:77], v[68:69], v[68:69] op_sel:[0,1]
	s_xor_b64 exec, exec, s[26:27]
	s_cbranch_execnz .LBB4_172
.LBB4_134:                              ;   in Loop: Header=BB4_88 Depth=1
	s_or_b64 exec, exec, s[26:27]
	s_and_saveexec_b64 s[26:27], s[24:25]
	s_cbranch_execz .LBB4_87
	s_branch .LBB4_205
.LBB4_135:                              ;   in Loop: Header=BB4_88 Depth=1
	s_waitcnt vmcnt(0)
	v_cmp_eq_u32_e32 vcc, v89, v82
	s_and_b64 s[24:25], vcc, exec
	s_or_saveexec_b64 s[26:27], s[26:27]
	v_pk_mov_b32 v[76:77], v[26:27], v[26:27] op_sel:[0,1]
	s_xor_b64 exec, exec, s[26:27]
	s_cbranch_execz .LBB4_104
.LBB4_136:                              ;   in Loop: Header=BB4_88 Depth=1
	global_load_dword v74, v[32:33], off
	global_load_dword v91, v[34:35], off
	s_mov_b64 s[30:31], s[24:25]
                                        ; implicit-def: $vgpr76_vgpr77
	s_waitcnt vmcnt(0)
	v_cmp_lt_i32_e32 vcc, v74, v91
	s_and_saveexec_b64 s[28:29], vcc
	s_cbranch_execz .LBB4_180
; %bb.137:                              ;   in Loop: Header=BB4_88 Depth=1
	v_ashrrev_i32_e32 v75, 31, v74
	v_lshlrev_b64 v[76:77], 2, v[74:75]
	v_mov_b32_e32 v78, s17
	v_add_co_u32_e32 v76, vcc, s16, v76
	v_addc_co_u32_e32 v77, vcc, v78, v77, vcc
	s_mov_b64 s[34:35], 0
                                        ; implicit-def: $sgpr30_sgpr31
                                        ; implicit-def: $sgpr38_sgpr39
                                        ; implicit-def: $sgpr36_sgpr37
	s_branch .LBB4_139
.LBB4_138:                              ;   in Loop: Header=BB4_139 Depth=2
	s_or_b64 exec, exec, s[40:41]
	s_and_b64 s[40:41], exec, s[38:39]
	s_or_b64 s[34:35], s[40:41], s[34:35]
	s_andn2_b64 s[30:31], s[30:31], exec
	s_and_b64 s[40:41], s[36:37], exec
	s_or_b64 s[30:31], s[30:31], s[40:41]
	s_andn2_b64 exec, exec, s[34:35]
	s_cbranch_execz .LBB4_177
.LBB4_139:                              ;   Parent Loop BB4_88 Depth=1
                                        ; =>  This Inner Loop Header: Depth=2
	global_load_dword v92, v[76:77], off
	v_pk_mov_b32 v[78:79], v[74:75], v[74:75] op_sel:[0,1]
	s_or_b64 s[36:37], s[36:37], exec
	s_or_b64 s[38:39], s[38:39], exec
                                        ; implicit-def: $vgpr74_vgpr75
	s_waitcnt vmcnt(0)
	v_cmp_ne_u32_e32 vcc, v92, v89
	s_and_saveexec_b64 s[40:41], vcc
	s_cbranch_execz .LBB4_138
; %bb.140:                              ;   in Loop: Header=BB4_139 Depth=2
	v_add_co_u32_e32 v74, vcc, 1, v78
	v_addc_co_u32_e32 v75, vcc, 0, v79, vcc
	v_add_co_u32_e32 v76, vcc, 4, v76
	v_addc_co_u32_e32 v77, vcc, 0, v77, vcc
	v_cmp_ge_i32_e32 vcc, v74, v91
	s_andn2_b64 s[38:39], s[38:39], exec
	s_and_b64 s[42:43], vcc, exec
	s_andn2_b64 s[36:37], s[36:37], exec
	s_or_b64 s[38:39], s[38:39], s[42:43]
	s_branch .LBB4_138
.LBB4_141:                              ;   in Loop: Header=BB4_88 Depth=1
	s_waitcnt vmcnt(0)
	v_cmp_eq_u32_e32 vcc, v89, v83
	s_and_b64 s[24:25], vcc, exec
	s_or_saveexec_b64 s[26:27], s[26:27]
	v_pk_mov_b32 v[76:77], v[66:67], v[66:67] op_sel:[0,1]
	s_xor_b64 exec, exec, s[26:27]
	s_cbranch_execz .LBB4_108
.LBB4_142:                              ;   in Loop: Header=BB4_88 Depth=1
	global_load_dword v74, v[36:37], off
	global_load_dword v91, v[38:39], off
	s_mov_b64 s[30:31], s[24:25]
                                        ; implicit-def: $vgpr76_vgpr77
	s_waitcnt vmcnt(0)
	v_cmp_lt_i32_e32 vcc, v74, v91
	s_and_saveexec_b64 s[28:29], vcc
	s_cbranch_execz .LBB4_184
; %bb.143:                              ;   in Loop: Header=BB4_88 Depth=1
	v_ashrrev_i32_e32 v75, 31, v74
	v_lshlrev_b64 v[76:77], 2, v[74:75]
	v_mov_b32_e32 v78, s17
	v_add_co_u32_e32 v76, vcc, s16, v76
	v_addc_co_u32_e32 v77, vcc, v78, v77, vcc
	s_mov_b64 s[34:35], 0
                                        ; implicit-def: $sgpr30_sgpr31
                                        ; implicit-def: $sgpr38_sgpr39
                                        ; implicit-def: $sgpr36_sgpr37
	s_branch .LBB4_145
.LBB4_144:                              ;   in Loop: Header=BB4_145 Depth=2
	s_or_b64 exec, exec, s[40:41]
	s_and_b64 s[40:41], exec, s[38:39]
	s_or_b64 s[34:35], s[40:41], s[34:35]
	s_andn2_b64 s[30:31], s[30:31], exec
	s_and_b64 s[40:41], s[36:37], exec
	s_or_b64 s[30:31], s[30:31], s[40:41]
	s_andn2_b64 exec, exec, s[34:35]
	s_cbranch_execz .LBB4_181
.LBB4_145:                              ;   Parent Loop BB4_88 Depth=1
                                        ; =>  This Inner Loop Header: Depth=2
	global_load_dword v92, v[76:77], off
	v_pk_mov_b32 v[78:79], v[74:75], v[74:75] op_sel:[0,1]
	s_or_b64 s[36:37], s[36:37], exec
	s_or_b64 s[38:39], s[38:39], exec
                                        ; implicit-def: $vgpr74_vgpr75
	s_waitcnt vmcnt(0)
	v_cmp_ne_u32_e32 vcc, v92, v89
	s_and_saveexec_b64 s[40:41], vcc
	s_cbranch_execz .LBB4_144
; %bb.146:                              ;   in Loop: Header=BB4_145 Depth=2
	v_add_co_u32_e32 v74, vcc, 1, v78
	v_addc_co_u32_e32 v75, vcc, 0, v79, vcc
	v_add_co_u32_e32 v76, vcc, 4, v76
	v_addc_co_u32_e32 v77, vcc, 0, v77, vcc
	v_cmp_ge_i32_e32 vcc, v74, v91
	s_andn2_b64 s[38:39], s[38:39], exec
	s_and_b64 s[42:43], vcc, exec
	s_andn2_b64 s[36:37], s[36:37], exec
	s_or_b64 s[38:39], s[38:39], s[42:43]
	s_branch .LBB4_144
.LBB4_147:                              ;   in Loop: Header=BB4_88 Depth=1
	s_waitcnt vmcnt(0)
	v_cmp_eq_u32_e32 vcc, v89, v84
	s_and_b64 s[24:25], vcc, exec
	s_or_saveexec_b64 s[26:27], s[26:27]
	v_pk_mov_b32 v[76:77], v[40:41], v[40:41] op_sel:[0,1]
	s_xor_b64 exec, exec, s[26:27]
	s_cbranch_execz .LBB4_112
.LBB4_148:                              ;   in Loop: Header=BB4_88 Depth=1
	global_load_dword v74, v[42:43], off
	global_load_dword v91, v[44:45], off
	s_mov_b64 s[30:31], s[24:25]
                                        ; implicit-def: $vgpr76_vgpr77
	s_waitcnt vmcnt(0)
	v_cmp_lt_i32_e32 vcc, v74, v91
	s_and_saveexec_b64 s[28:29], vcc
	s_cbranch_execz .LBB4_188
; %bb.149:                              ;   in Loop: Header=BB4_88 Depth=1
	v_ashrrev_i32_e32 v75, 31, v74
	v_lshlrev_b64 v[76:77], 2, v[74:75]
	v_mov_b32_e32 v78, s17
	v_add_co_u32_e32 v76, vcc, s16, v76
	v_addc_co_u32_e32 v77, vcc, v78, v77, vcc
	s_mov_b64 s[34:35], 0
                                        ; implicit-def: $sgpr30_sgpr31
                                        ; implicit-def: $sgpr38_sgpr39
                                        ; implicit-def: $sgpr36_sgpr37
	s_branch .LBB4_151
.LBB4_150:                              ;   in Loop: Header=BB4_151 Depth=2
	s_or_b64 exec, exec, s[40:41]
	s_and_b64 s[40:41], exec, s[38:39]
	s_or_b64 s[34:35], s[40:41], s[34:35]
	s_andn2_b64 s[30:31], s[30:31], exec
	s_and_b64 s[40:41], s[36:37], exec
	s_or_b64 s[30:31], s[30:31], s[40:41]
	s_andn2_b64 exec, exec, s[34:35]
	s_cbranch_execz .LBB4_185
.LBB4_151:                              ;   Parent Loop BB4_88 Depth=1
                                        ; =>  This Inner Loop Header: Depth=2
	global_load_dword v92, v[76:77], off
	v_pk_mov_b32 v[78:79], v[74:75], v[74:75] op_sel:[0,1]
	s_or_b64 s[36:37], s[36:37], exec
	s_or_b64 s[38:39], s[38:39], exec
                                        ; implicit-def: $vgpr74_vgpr75
	s_waitcnt vmcnt(0)
	v_cmp_ne_u32_e32 vcc, v92, v89
	s_and_saveexec_b64 s[40:41], vcc
	s_cbranch_execz .LBB4_150
; %bb.152:                              ;   in Loop: Header=BB4_151 Depth=2
	v_add_co_u32_e32 v74, vcc, 1, v78
	v_addc_co_u32_e32 v75, vcc, 0, v79, vcc
	v_add_co_u32_e32 v76, vcc, 4, v76
	v_addc_co_u32_e32 v77, vcc, 0, v77, vcc
	v_cmp_ge_i32_e32 vcc, v74, v91
	s_andn2_b64 s[38:39], s[38:39], exec
	s_and_b64 s[42:43], vcc, exec
	s_andn2_b64 s[36:37], s[36:37], exec
	s_or_b64 s[38:39], s[38:39], s[42:43]
	s_branch .LBB4_150
.LBB4_153:                              ;   in Loop: Header=BB4_88 Depth=1
	v_cmp_eq_u32_e32 vcc, v89, v85
	s_and_b64 s[24:25], vcc, exec
	s_or_saveexec_b64 s[26:27], s[26:27]
	v_pk_mov_b32 v[76:77], v[16:17], v[16:17] op_sel:[0,1]
	s_xor_b64 exec, exec, s[26:27]
	s_cbranch_execz .LBB4_122
.LBB4_154:                              ;   in Loop: Header=BB4_88 Depth=1
	global_load_dword v74, v[46:47], off
	global_load_dword v91, v[48:49], off
	s_mov_b64 s[30:31], s[24:25]
                                        ; implicit-def: $vgpr76_vgpr77
	s_waitcnt vmcnt(0)
	v_cmp_lt_i32_e32 vcc, v74, v91
	s_and_saveexec_b64 s[28:29], vcc
	s_cbranch_execz .LBB4_192
; %bb.155:                              ;   in Loop: Header=BB4_88 Depth=1
	v_ashrrev_i32_e32 v75, 31, v74
	v_lshlrev_b64 v[76:77], 2, v[74:75]
	v_mov_b32_e32 v78, s17
	v_add_co_u32_e32 v76, vcc, s16, v76
	v_addc_co_u32_e32 v77, vcc, v78, v77, vcc
	s_mov_b64 s[34:35], 0
                                        ; implicit-def: $sgpr30_sgpr31
                                        ; implicit-def: $sgpr38_sgpr39
                                        ; implicit-def: $sgpr36_sgpr37
	s_branch .LBB4_157
.LBB4_156:                              ;   in Loop: Header=BB4_157 Depth=2
	s_or_b64 exec, exec, s[40:41]
	s_and_b64 s[40:41], exec, s[38:39]
	s_or_b64 s[34:35], s[40:41], s[34:35]
	s_andn2_b64 s[30:31], s[30:31], exec
	s_and_b64 s[40:41], s[36:37], exec
	s_or_b64 s[30:31], s[30:31], s[40:41]
	s_andn2_b64 exec, exec, s[34:35]
	s_cbranch_execz .LBB4_189
.LBB4_157:                              ;   Parent Loop BB4_88 Depth=1
                                        ; =>  This Inner Loop Header: Depth=2
	global_load_dword v92, v[76:77], off
	v_pk_mov_b32 v[78:79], v[74:75], v[74:75] op_sel:[0,1]
	s_or_b64 s[36:37], s[36:37], exec
	s_or_b64 s[38:39], s[38:39], exec
                                        ; implicit-def: $vgpr74_vgpr75
	s_waitcnt vmcnt(0)
	v_cmp_ne_u32_e32 vcc, v92, v89
	s_and_saveexec_b64 s[40:41], vcc
	s_cbranch_execz .LBB4_156
; %bb.158:                              ;   in Loop: Header=BB4_157 Depth=2
	v_add_co_u32_e32 v74, vcc, 1, v78
	v_addc_co_u32_e32 v75, vcc, 0, v79, vcc
	v_add_co_u32_e32 v76, vcc, 4, v76
	v_addc_co_u32_e32 v77, vcc, 0, v77, vcc
	v_cmp_ge_i32_e32 vcc, v74, v91
	s_andn2_b64 s[38:39], s[38:39], exec
	s_and_b64 s[42:43], vcc, exec
	s_andn2_b64 s[36:37], s[36:37], exec
	s_or_b64 s[38:39], s[38:39], s[42:43]
	s_branch .LBB4_156
.LBB4_159:                              ;   in Loop: Header=BB4_88 Depth=1
	v_cmp_eq_u32_e32 vcc, v89, v86
	s_and_b64 s[24:25], vcc, exec
	s_or_saveexec_b64 s[26:27], s[26:27]
	v_pk_mov_b32 v[76:77], v[50:51], v[50:51] op_sel:[0,1]
	s_xor_b64 exec, exec, s[26:27]
	s_cbranch_execz .LBB4_126
.LBB4_160:                              ;   in Loop: Header=BB4_88 Depth=1
	global_load_dword v74, v[52:53], off
	global_load_dword v91, v[54:55], off
	s_mov_b64 s[30:31], s[24:25]
                                        ; implicit-def: $vgpr76_vgpr77
	s_waitcnt vmcnt(0)
	v_cmp_lt_i32_e32 vcc, v74, v91
	s_and_saveexec_b64 s[28:29], vcc
	s_cbranch_execz .LBB4_196
; %bb.161:                              ;   in Loop: Header=BB4_88 Depth=1
	v_ashrrev_i32_e32 v75, 31, v74
	v_lshlrev_b64 v[76:77], 2, v[74:75]
	v_mov_b32_e32 v78, s17
	v_add_co_u32_e32 v76, vcc, s16, v76
	v_addc_co_u32_e32 v77, vcc, v78, v77, vcc
	s_mov_b64 s[34:35], 0
                                        ; implicit-def: $sgpr30_sgpr31
                                        ; implicit-def: $sgpr38_sgpr39
                                        ; implicit-def: $sgpr36_sgpr37
	s_branch .LBB4_163
.LBB4_162:                              ;   in Loop: Header=BB4_163 Depth=2
	s_or_b64 exec, exec, s[40:41]
	s_and_b64 s[40:41], exec, s[38:39]
	s_or_b64 s[34:35], s[40:41], s[34:35]
	s_andn2_b64 s[30:31], s[30:31], exec
	s_and_b64 s[40:41], s[36:37], exec
	s_or_b64 s[30:31], s[30:31], s[40:41]
	s_andn2_b64 exec, exec, s[34:35]
	s_cbranch_execz .LBB4_193
.LBB4_163:                              ;   Parent Loop BB4_88 Depth=1
                                        ; =>  This Inner Loop Header: Depth=2
	global_load_dword v92, v[76:77], off
	v_pk_mov_b32 v[78:79], v[74:75], v[74:75] op_sel:[0,1]
	s_or_b64 s[36:37], s[36:37], exec
	s_or_b64 s[38:39], s[38:39], exec
                                        ; implicit-def: $vgpr74_vgpr75
	s_waitcnt vmcnt(0)
	v_cmp_ne_u32_e32 vcc, v92, v89
	s_and_saveexec_b64 s[40:41], vcc
	s_cbranch_execz .LBB4_162
; %bb.164:                              ;   in Loop: Header=BB4_163 Depth=2
	v_add_co_u32_e32 v74, vcc, 1, v78
	v_addc_co_u32_e32 v75, vcc, 0, v79, vcc
	v_add_co_u32_e32 v76, vcc, 4, v76
	v_addc_co_u32_e32 v77, vcc, 0, v77, vcc
	v_cmp_ge_i32_e32 vcc, v74, v91
	s_andn2_b64 s[38:39], s[38:39], exec
	s_and_b64 s[42:43], vcc, exec
	s_andn2_b64 s[36:37], s[36:37], exec
	s_or_b64 s[38:39], s[38:39], s[42:43]
	s_branch .LBB4_162
.LBB4_165:                              ;   in Loop: Header=BB4_88 Depth=1
	v_cmp_eq_u32_e32 vcc, v89, v87
	s_and_b64 s[24:25], vcc, exec
	s_or_saveexec_b64 s[26:27], s[26:27]
	v_pk_mov_b32 v[76:77], v[22:23], v[22:23] op_sel:[0,1]
	s_xor_b64 exec, exec, s[26:27]
	s_cbranch_execz .LBB4_130
.LBB4_166:                              ;   in Loop: Header=BB4_88 Depth=1
	global_load_dword v74, v[56:57], off
	global_load_dword v91, v[58:59], off
	s_mov_b64 s[30:31], s[24:25]
                                        ; implicit-def: $vgpr76_vgpr77
	s_waitcnt vmcnt(0)
	v_cmp_lt_i32_e32 vcc, v74, v91
	s_and_saveexec_b64 s[28:29], vcc
	s_cbranch_execz .LBB4_200
; %bb.167:                              ;   in Loop: Header=BB4_88 Depth=1
	v_ashrrev_i32_e32 v75, 31, v74
	v_lshlrev_b64 v[76:77], 2, v[74:75]
	v_mov_b32_e32 v78, s17
	v_add_co_u32_e32 v76, vcc, s16, v76
	v_addc_co_u32_e32 v77, vcc, v78, v77, vcc
	s_mov_b64 s[34:35], 0
                                        ; implicit-def: $sgpr30_sgpr31
                                        ; implicit-def: $sgpr38_sgpr39
                                        ; implicit-def: $sgpr36_sgpr37
	s_branch .LBB4_169
.LBB4_168:                              ;   in Loop: Header=BB4_169 Depth=2
	s_or_b64 exec, exec, s[40:41]
	s_and_b64 s[40:41], exec, s[38:39]
	s_or_b64 s[34:35], s[40:41], s[34:35]
	s_andn2_b64 s[30:31], s[30:31], exec
	s_and_b64 s[40:41], s[36:37], exec
	s_or_b64 s[30:31], s[30:31], s[40:41]
	s_andn2_b64 exec, exec, s[34:35]
	s_cbranch_execz .LBB4_197
.LBB4_169:                              ;   Parent Loop BB4_88 Depth=1
                                        ; =>  This Inner Loop Header: Depth=2
	global_load_dword v92, v[76:77], off
	v_pk_mov_b32 v[78:79], v[74:75], v[74:75] op_sel:[0,1]
	s_or_b64 s[36:37], s[36:37], exec
	s_or_b64 s[38:39], s[38:39], exec
                                        ; implicit-def: $vgpr74_vgpr75
	s_waitcnt vmcnt(0)
	v_cmp_ne_u32_e32 vcc, v92, v89
	s_and_saveexec_b64 s[40:41], vcc
	s_cbranch_execz .LBB4_168
; %bb.170:                              ;   in Loop: Header=BB4_169 Depth=2
	v_add_co_u32_e32 v74, vcc, 1, v78
	v_addc_co_u32_e32 v75, vcc, 0, v79, vcc
	v_add_co_u32_e32 v76, vcc, 4, v76
	v_addc_co_u32_e32 v77, vcc, 0, v77, vcc
	v_cmp_ge_i32_e32 vcc, v74, v91
	s_andn2_b64 s[38:39], s[38:39], exec
	s_and_b64 s[42:43], vcc, exec
	s_andn2_b64 s[36:37], s[36:37], exec
	s_or_b64 s[38:39], s[38:39], s[42:43]
	s_branch .LBB4_168
.LBB4_171:                              ;   in Loop: Header=BB4_88 Depth=1
	v_cmp_eq_u32_e32 vcc, v89, v88
	s_and_b64 s[24:25], vcc, exec
                                        ; implicit-def: $vgpr89
	s_or_saveexec_b64 s[26:27], s[26:27]
	v_pk_mov_b32 v[76:77], v[68:69], v[68:69] op_sel:[0,1]
	s_xor_b64 exec, exec, s[26:27]
	s_cbranch_execz .LBB4_134
.LBB4_172:                              ;   in Loop: Header=BB4_88 Depth=1
	global_load_dword v74, v[60:61], off
	global_load_dword v91, v[62:63], off
	s_mov_b64 s[30:31], s[24:25]
                                        ; implicit-def: $vgpr76_vgpr77
	s_waitcnt vmcnt(0)
	v_cmp_lt_i32_e32 vcc, v74, v91
	s_and_saveexec_b64 s[28:29], vcc
	s_cbranch_execz .LBB4_204
; %bb.173:                              ;   in Loop: Header=BB4_88 Depth=1
	v_ashrrev_i32_e32 v75, 31, v74
	v_lshlrev_b64 v[76:77], 2, v[74:75]
	v_mov_b32_e32 v78, s17
	v_add_co_u32_e32 v76, vcc, s16, v76
	v_addc_co_u32_e32 v77, vcc, v78, v77, vcc
	s_mov_b64 s[34:35], 0
                                        ; implicit-def: $sgpr30_sgpr31
                                        ; implicit-def: $sgpr38_sgpr39
                                        ; implicit-def: $sgpr36_sgpr37
	s_branch .LBB4_175
.LBB4_174:                              ;   in Loop: Header=BB4_175 Depth=2
	s_or_b64 exec, exec, s[40:41]
	s_and_b64 s[40:41], exec, s[38:39]
	s_or_b64 s[34:35], s[40:41], s[34:35]
	s_andn2_b64 s[30:31], s[30:31], exec
	s_and_b64 s[40:41], s[36:37], exec
	s_or_b64 s[30:31], s[30:31], s[40:41]
	s_andn2_b64 exec, exec, s[34:35]
	s_cbranch_execz .LBB4_201
.LBB4_175:                              ;   Parent Loop BB4_88 Depth=1
                                        ; =>  This Inner Loop Header: Depth=2
	global_load_dword v92, v[76:77], off
	v_pk_mov_b32 v[78:79], v[74:75], v[74:75] op_sel:[0,1]
	s_or_b64 s[36:37], s[36:37], exec
	s_or_b64 s[38:39], s[38:39], exec
                                        ; implicit-def: $vgpr74_vgpr75
	s_waitcnt vmcnt(0)
	v_cmp_ne_u32_e32 vcc, v92, v89
	s_and_saveexec_b64 s[40:41], vcc
	s_cbranch_execz .LBB4_174
; %bb.176:                              ;   in Loop: Header=BB4_175 Depth=2
	v_add_co_u32_e32 v74, vcc, 1, v78
	v_addc_co_u32_e32 v75, vcc, 0, v79, vcc
	v_add_co_u32_e32 v76, vcc, 4, v76
	v_addc_co_u32_e32 v77, vcc, 0, v77, vcc
	v_cmp_ge_i32_e32 vcc, v74, v91
	s_andn2_b64 s[38:39], s[38:39], exec
	s_and_b64 s[42:43], vcc, exec
	s_andn2_b64 s[36:37], s[36:37], exec
	s_or_b64 s[38:39], s[38:39], s[42:43]
	s_branch .LBB4_174
.LBB4_177:                              ;   in Loop: Header=BB4_88 Depth=1
	s_or_b64 exec, exec, s[34:35]
	s_mov_b64 s[34:35], s[24:25]
                                        ; implicit-def: $vgpr76_vgpr77
	s_and_saveexec_b64 s[36:37], s[30:31]
	s_xor_b64 s[30:31], exec, s[36:37]
; %bb.178:                              ;   in Loop: Header=BB4_88 Depth=1
	v_lshlrev_b64 v[74:75], 3, v[78:79]
	v_mov_b32_e32 v77, s21
	v_add_co_u32_e32 v76, vcc, s20, v74
	v_addc_co_u32_e32 v77, vcc, v77, v75, vcc
	s_or_b64 s[34:35], s[24:25], exec
; %bb.179:                              ;   in Loop: Header=BB4_88 Depth=1
	s_or_b64 exec, exec, s[30:31]
	s_andn2_b64 s[30:31], s[24:25], exec
	s_and_b64 s[34:35], s[34:35], exec
	s_or_b64 s[30:31], s[30:31], s[34:35]
.LBB4_180:                              ;   in Loop: Header=BB4_88 Depth=1
	s_or_b64 exec, exec, s[28:29]
	s_andn2_b64 s[24:25], s[24:25], exec
	s_and_b64 s[28:29], s[30:31], exec
	s_or_b64 s[24:25], s[24:25], s[28:29]
	s_or_b64 exec, exec, s[26:27]
	s_and_saveexec_b64 s[26:27], s[24:25]
	s_cbranch_execnz .LBB4_105
	s_branch .LBB4_106
.LBB4_181:                              ;   in Loop: Header=BB4_88 Depth=1
	s_or_b64 exec, exec, s[34:35]
	s_mov_b64 s[34:35], s[24:25]
                                        ; implicit-def: $vgpr76_vgpr77
	s_and_saveexec_b64 s[36:37], s[30:31]
	s_xor_b64 s[30:31], exec, s[36:37]
; %bb.182:                              ;   in Loop: Header=BB4_88 Depth=1
	v_lshlrev_b64 v[74:75], 3, v[78:79]
	v_mov_b32_e32 v77, s21
	v_add_co_u32_e32 v76, vcc, s20, v74
	v_addc_co_u32_e32 v77, vcc, v77, v75, vcc
	s_or_b64 s[34:35], s[24:25], exec
; %bb.183:                              ;   in Loop: Header=BB4_88 Depth=1
	s_or_b64 exec, exec, s[30:31]
	s_andn2_b64 s[30:31], s[24:25], exec
	s_and_b64 s[34:35], s[34:35], exec
	s_or_b64 s[30:31], s[30:31], s[34:35]
.LBB4_184:                              ;   in Loop: Header=BB4_88 Depth=1
	s_or_b64 exec, exec, s[28:29]
	s_andn2_b64 s[24:25], s[24:25], exec
	s_and_b64 s[28:29], s[30:31], exec
	s_or_b64 s[24:25], s[24:25], s[28:29]
	s_or_b64 exec, exec, s[26:27]
	s_and_saveexec_b64 s[26:27], s[24:25]
	s_cbranch_execnz .LBB4_109
	s_branch .LBB4_110
.LBB4_185:                              ;   in Loop: Header=BB4_88 Depth=1
	s_or_b64 exec, exec, s[34:35]
	s_mov_b64 s[34:35], s[24:25]
                                        ; implicit-def: $vgpr76_vgpr77
	s_and_saveexec_b64 s[36:37], s[30:31]
	s_xor_b64 s[30:31], exec, s[36:37]
; %bb.186:                              ;   in Loop: Header=BB4_88 Depth=1
	v_lshlrev_b64 v[74:75], 3, v[78:79]
	v_mov_b32_e32 v77, s21
	v_add_co_u32_e32 v76, vcc, s20, v74
	v_addc_co_u32_e32 v77, vcc, v77, v75, vcc
	s_or_b64 s[34:35], s[24:25], exec
; %bb.187:                              ;   in Loop: Header=BB4_88 Depth=1
	s_or_b64 exec, exec, s[30:31]
	s_andn2_b64 s[30:31], s[24:25], exec
	s_and_b64 s[34:35], s[34:35], exec
	s_or_b64 s[30:31], s[30:31], s[34:35]
.LBB4_188:                              ;   in Loop: Header=BB4_88 Depth=1
	s_or_b64 exec, exec, s[28:29]
	s_andn2_b64 s[24:25], s[24:25], exec
	s_and_b64 s[28:29], s[30:31], exec
	s_or_b64 s[24:25], s[24:25], s[28:29]
	s_or_b64 exec, exec, s[26:27]
	s_and_saveexec_b64 s[26:27], s[24:25]
	s_cbranch_execnz .LBB4_113
	s_branch .LBB4_114
.LBB4_189:                              ;   in Loop: Header=BB4_88 Depth=1
	s_or_b64 exec, exec, s[34:35]
	s_mov_b64 s[34:35], s[24:25]
                                        ; implicit-def: $vgpr76_vgpr77
	s_and_saveexec_b64 s[36:37], s[30:31]
	s_xor_b64 s[30:31], exec, s[36:37]
; %bb.190:                              ;   in Loop: Header=BB4_88 Depth=1
	v_lshlrev_b64 v[74:75], 3, v[78:79]
	v_mov_b32_e32 v77, s21
	v_add_co_u32_e32 v76, vcc, s20, v74
	v_addc_co_u32_e32 v77, vcc, v77, v75, vcc
	s_or_b64 s[34:35], s[24:25], exec
; %bb.191:                              ;   in Loop: Header=BB4_88 Depth=1
	s_or_b64 exec, exec, s[30:31]
	s_andn2_b64 s[30:31], s[24:25], exec
	s_and_b64 s[34:35], s[34:35], exec
	s_or_b64 s[30:31], s[30:31], s[34:35]
.LBB4_192:                              ;   in Loop: Header=BB4_88 Depth=1
	s_or_b64 exec, exec, s[28:29]
	s_andn2_b64 s[24:25], s[24:25], exec
	s_and_b64 s[28:29], s[30:31], exec
	s_or_b64 s[24:25], s[24:25], s[28:29]
	s_or_b64 exec, exec, s[26:27]
	s_and_saveexec_b64 s[26:27], s[24:25]
	s_cbranch_execnz .LBB4_123
	s_branch .LBB4_124
.LBB4_193:                              ;   in Loop: Header=BB4_88 Depth=1
	s_or_b64 exec, exec, s[34:35]
	s_mov_b64 s[34:35], s[24:25]
                                        ; implicit-def: $vgpr76_vgpr77
	s_and_saveexec_b64 s[36:37], s[30:31]
	s_xor_b64 s[30:31], exec, s[36:37]
; %bb.194:                              ;   in Loop: Header=BB4_88 Depth=1
	v_lshlrev_b64 v[74:75], 3, v[78:79]
	v_mov_b32_e32 v77, s21
	v_add_co_u32_e32 v76, vcc, s20, v74
	v_addc_co_u32_e32 v77, vcc, v77, v75, vcc
	s_or_b64 s[34:35], s[24:25], exec
; %bb.195:                              ;   in Loop: Header=BB4_88 Depth=1
	s_or_b64 exec, exec, s[30:31]
	s_andn2_b64 s[30:31], s[24:25], exec
	s_and_b64 s[34:35], s[34:35], exec
	s_or_b64 s[30:31], s[30:31], s[34:35]
.LBB4_196:                              ;   in Loop: Header=BB4_88 Depth=1
	s_or_b64 exec, exec, s[28:29]
	s_andn2_b64 s[24:25], s[24:25], exec
	s_and_b64 s[28:29], s[30:31], exec
	s_or_b64 s[24:25], s[24:25], s[28:29]
	s_or_b64 exec, exec, s[26:27]
	s_and_saveexec_b64 s[26:27], s[24:25]
	s_cbranch_execnz .LBB4_127
	s_branch .LBB4_128
.LBB4_197:                              ;   in Loop: Header=BB4_88 Depth=1
	s_or_b64 exec, exec, s[34:35]
	s_mov_b64 s[34:35], s[24:25]
                                        ; implicit-def: $vgpr76_vgpr77
	s_and_saveexec_b64 s[36:37], s[30:31]
	s_xor_b64 s[30:31], exec, s[36:37]
; %bb.198:                              ;   in Loop: Header=BB4_88 Depth=1
	v_lshlrev_b64 v[74:75], 3, v[78:79]
	v_mov_b32_e32 v77, s21
	v_add_co_u32_e32 v76, vcc, s20, v74
	v_addc_co_u32_e32 v77, vcc, v77, v75, vcc
	s_or_b64 s[34:35], s[24:25], exec
; %bb.199:                              ;   in Loop: Header=BB4_88 Depth=1
	s_or_b64 exec, exec, s[30:31]
	s_andn2_b64 s[30:31], s[24:25], exec
	s_and_b64 s[34:35], s[34:35], exec
	s_or_b64 s[30:31], s[30:31], s[34:35]
.LBB4_200:                              ;   in Loop: Header=BB4_88 Depth=1
	s_or_b64 exec, exec, s[28:29]
	s_andn2_b64 s[24:25], s[24:25], exec
	s_and_b64 s[28:29], s[30:31], exec
	s_or_b64 s[24:25], s[24:25], s[28:29]
	s_or_b64 exec, exec, s[26:27]
	s_and_saveexec_b64 s[26:27], s[24:25]
	s_cbranch_execnz .LBB4_131
	s_branch .LBB4_132
.LBB4_201:                              ;   in Loop: Header=BB4_88 Depth=1
	s_or_b64 exec, exec, s[34:35]
	s_mov_b64 s[34:35], s[24:25]
                                        ; implicit-def: $vgpr76_vgpr77
	s_and_saveexec_b64 s[36:37], s[30:31]
	s_xor_b64 s[30:31], exec, s[36:37]
; %bb.202:                              ;   in Loop: Header=BB4_88 Depth=1
	v_lshlrev_b64 v[74:75], 3, v[78:79]
	v_mov_b32_e32 v77, s21
	v_add_co_u32_e32 v76, vcc, s20, v74
	v_addc_co_u32_e32 v77, vcc, v77, v75, vcc
	s_or_b64 s[34:35], s[24:25], exec
; %bb.203:                              ;   in Loop: Header=BB4_88 Depth=1
	s_or_b64 exec, exec, s[30:31]
	s_andn2_b64 s[30:31], s[24:25], exec
	s_and_b64 s[34:35], s[34:35], exec
	s_or_b64 s[30:31], s[30:31], s[34:35]
.LBB4_204:                              ;   in Loop: Header=BB4_88 Depth=1
	s_or_b64 exec, exec, s[28:29]
	s_andn2_b64 s[24:25], s[24:25], exec
	s_and_b64 s[28:29], s[30:31], exec
	s_or_b64 s[24:25], s[24:25], s[28:29]
	s_or_b64 exec, exec, s[26:27]
	s_and_saveexec_b64 s[26:27], s[24:25]
	s_cbranch_execz .LBB4_87
.LBB4_205:                              ;   in Loop: Header=BB4_88 Depth=1
	global_load_dwordx2 v[74:75], v[76:77], off
	v_add_u32_e32 v90, 1, v90
	s_waitcnt vmcnt(0)
	v_div_scale_f64 v[76:77], s[24:25], v[0:1], v[0:1], v[74:75]
	v_rcp_f64_e32 v[78:79], v[76:77]
	v_div_scale_f64 v[92:93], vcc, v[74:75], v[0:1], v[74:75]
	v_fma_f64 v[94:95], -v[76:77], v[78:79], 1.0
	v_fmac_f64_e32 v[78:79], v[78:79], v[94:95]
	v_fma_f64 v[94:95], -v[76:77], v[78:79], 1.0
	v_fmac_f64_e32 v[78:79], v[78:79], v[94:95]
	v_mul_f64 v[94:95], v[92:93], v[78:79]
	v_fma_f64 v[76:77], -v[76:77], v[94:95], v[92:93]
	v_div_fmas_f64 v[76:77], v[76:77], v[78:79], v[94:95]
	v_div_fixup_f64 v[74:75], v[76:77], v[0:1], v[74:75]
	v_add_f64 v[72:73], v[72:73], v[74:75]
	s_branch .LBB4_87
.LBB4_206:
	s_endpgm
.LBB4_207:
	s_or_b64 exec, exec, s[26:27]
	s_mov_b64 s[26:27], s[12:13]
                                        ; implicit-def: $vgpr20_vgpr21
	s_and_saveexec_b64 s[28:29], s[24:25]
	s_xor_b64 s[24:25], exec, s[28:29]
; %bb.208:
	v_lshlrev_b64 v[20:21], 3, v[30:31]
	v_mov_b32_e32 v4, s21
	v_add_co_u32_e32 v20, vcc, s20, v20
	v_addc_co_u32_e32 v21, vcc, v4, v21, vcc
	s_or_b64 s[26:27], s[12:13], exec
; %bb.209:
	s_or_b64 exec, exec, s[24:25]
	s_andn2_b64 s[24:25], s[12:13], exec
	s_and_b64 s[26:27], s[26:27], exec
	s_or_b64 s[24:25], s[24:25], s[26:27]
.LBB4_210:
	s_or_b64 exec, exec, s[22:23]
	s_andn2_b64 s[12:13], s[12:13], exec
	s_and_b64 s[22:23], s[24:25], exec
	s_or_b64 s[12:13], s[12:13], s[22:23]
	s_or_b64 exec, exec, s[14:15]
	s_and_saveexec_b64 s[14:15], s[12:13]
	s_cbranch_execnz .LBB4_24
	s_branch .LBB4_25
.LBB4_211:
	s_or_b64 exec, exec, s[28:29]
	s_mov_b64 s[28:29], s[14:15]
                                        ; implicit-def: $vgpr18_vgpr19
	s_and_saveexec_b64 s[30:31], s[26:27]
	s_xor_b64 s[26:27], exec, s[30:31]
; %bb.212:
	v_lshlrev_b64 v[18:19], 3, v[28:29]
	v_mov_b32_e32 v4, s21
	v_add_co_u32_e32 v18, vcc, s20, v18
	v_addc_co_u32_e32 v19, vcc, v4, v19, vcc
	s_or_b64 s[28:29], s[14:15], exec
; %bb.213:
	s_or_b64 exec, exec, s[26:27]
	s_andn2_b64 s[26:27], s[14:15], exec
	s_and_b64 s[28:29], s[28:29], exec
	s_or_b64 s[26:27], s[26:27], s[28:29]
.LBB4_214:
	s_or_b64 exec, exec, s[24:25]
	s_andn2_b64 s[14:15], s[14:15], exec
	s_and_b64 s[24:25], s[26:27], exec
	s_or_b64 s[14:15], s[14:15], s[24:25]
	s_or_b64 exec, exec, s[22:23]
	s_and_saveexec_b64 s[22:23], s[14:15]
	s_cbranch_execnz .LBB4_29
	s_branch .LBB4_30
.LBB4_215:
	v_cmp_eq_u32_e32 vcc, v48, v4
                                        ; implicit-def: $vgpr14_vgpr15
	s_and_saveexec_b64 s[28:29], vcc
; %bb.216:
	v_lshlrev_b64 v[14:15], 3, v[18:19]
	v_mov_b32_e32 v4, s19
	v_add_co_u32_e32 v14, vcc, s18, v14
	s_mov_b64 s[24:25], exec
	v_addc_co_u32_e32 v15, vcc, v4, v15, vcc
; %bb.217:
	s_or_b64 exec, exec, s[28:29]
	s_and_b64 s[24:25], s[24:25], exec
                                        ; implicit-def: $vgpr4
	s_andn2_saveexec_b64 s[26:27], s[26:27]
	s_cbranch_execz .LBB4_53
.LBB4_218:
	v_sub_u32_e32 v14, 0, v4
	v_mov_b32_e32 v15, 0
	v_lshlrev_b64 v[14:15], 2, v[14:15]
	v_sub_u32_e32 v18, 1, v4
	v_mov_b32_e32 v21, s7
	v_add_co_u32_e32 v14, vcc, s6, v14
	v_ashrrev_i32_e32 v19, 31, v18
	v_addc_co_u32_e32 v15, vcc, v21, v15, vcc
	v_lshlrev_b64 v[18:19], 2, v[18:19]
	v_add_co_u32_e32 v20, vcc, s6, v18
	v_addc_co_u32_e32 v21, vcc, v21, v19, vcc
	global_load_dword v18, v[14:15], off
	global_load_dword v4, v[20:21], off
	s_mov_b64 s[30:31], s[24:25]
                                        ; implicit-def: $vgpr14_vgpr15
	s_waitcnt vmcnt(0)
	v_cmp_lt_i32_e32 vcc, v18, v4
	s_and_saveexec_b64 s[28:29], vcc
	s_cbranch_execz .LBB4_258
; %bb.219:
	v_ashrrev_i32_e32 v19, 31, v18
	v_lshlrev_b64 v[14:15], 2, v[18:19]
	v_mov_b32_e32 v20, s17
	v_add_co_u32_e32 v14, vcc, s16, v14
	v_addc_co_u32_e32 v15, vcc, v20, v15, vcc
	s_mov_b64 s[34:35], 0
                                        ; implicit-def: $sgpr30_sgpr31
                                        ; implicit-def: $sgpr38_sgpr39
                                        ; implicit-def: $sgpr36_sgpr37
	s_branch .LBB4_221
.LBB4_220:                              ;   in Loop: Header=BB4_221 Depth=1
	s_or_b64 exec, exec, s[40:41]
	s_and_b64 s[40:41], exec, s[38:39]
	s_or_b64 s[34:35], s[40:41], s[34:35]
	s_andn2_b64 s[30:31], s[30:31], exec
	s_and_b64 s[40:41], s[36:37], exec
	s_or_b64 s[30:31], s[30:31], s[40:41]
	s_andn2_b64 exec, exec, s[34:35]
	s_cbranch_execz .LBB4_255
.LBB4_221:                              ; =>This Inner Loop Header: Depth=1
	global_load_dword v28, v[14:15], off
	v_pk_mov_b32 v[20:21], v[18:19], v[18:19] op_sel:[0,1]
	s_or_b64 s[36:37], s[36:37], exec
	s_or_b64 s[38:39], s[38:39], exec
                                        ; implicit-def: $vgpr18_vgpr19
	s_waitcnt vmcnt(0)
	v_cmp_ne_u32_e32 vcc, v28, v38
	s_and_saveexec_b64 s[40:41], vcc
	s_cbranch_execz .LBB4_220
; %bb.222:                              ;   in Loop: Header=BB4_221 Depth=1
	v_add_co_u32_e32 v18, vcc, 1, v20
	v_addc_co_u32_e32 v19, vcc, 0, v21, vcc
	v_add_co_u32_e32 v14, vcc, 4, v14
	v_addc_co_u32_e32 v15, vcc, 0, v15, vcc
	v_cmp_ge_i32_e32 vcc, v18, v4
	s_andn2_b64 s[38:39], s[38:39], exec
	s_and_b64 s[42:43], vcc, exec
	s_andn2_b64 s[36:37], s[36:37], exec
	s_or_b64 s[38:39], s[38:39], s[42:43]
	s_branch .LBB4_220
.LBB4_223:
	v_cmp_eq_u32_e32 vcc, v48, v4
                                        ; implicit-def: $vgpr10_vgpr11
	s_and_saveexec_b64 s[28:29], vcc
; %bb.224:
	v_lshlrev_b64 v[10:11], 3, v[12:13]
	v_mov_b32_e32 v4, s19
	v_add_co_u32_e32 v10, vcc, s18, v10
	v_addc_co_u32_e32 v4, vcc, v4, v11, vcc
	v_add_co_u32_e32 v10, vcc, 8, v10
	s_mov_b64 s[24:25], exec
	v_addc_co_u32_e32 v11, vcc, 0, v4, vcc
; %bb.225:
	s_or_b64 exec, exec, s[28:29]
	s_and_b64 s[24:25], s[24:25], exec
                                        ; implicit-def: $vgpr4
	s_andn2_saveexec_b64 s[26:27], s[26:27]
	s_cbranch_execz .LBB4_59
.LBB4_226:
	v_sub_u32_e32 v10, 0, v4
	v_mov_b32_e32 v11, 0
	v_lshlrev_b64 v[10:11], 2, v[10:11]
	v_sub_u32_e32 v12, 1, v4
	v_mov_b32_e32 v15, s7
	v_add_co_u32_e32 v10, vcc, s6, v10
	v_ashrrev_i32_e32 v13, 31, v12
	v_addc_co_u32_e32 v11, vcc, v15, v11, vcc
	v_lshlrev_b64 v[12:13], 2, v[12:13]
	v_add_co_u32_e32 v14, vcc, s6, v12
	v_addc_co_u32_e32 v15, vcc, v15, v13, vcc
	global_load_dword v12, v[10:11], off
	global_load_dword v4, v[14:15], off
	s_mov_b64 s[30:31], s[24:25]
                                        ; implicit-def: $vgpr10_vgpr11
	s_waitcnt vmcnt(0)
	v_cmp_lt_i32_e32 vcc, v12, v4
	s_and_saveexec_b64 s[28:29], vcc
	s_cbranch_execz .LBB4_262
; %bb.227:
	v_ashrrev_i32_e32 v13, 31, v12
	v_lshlrev_b64 v[10:11], 2, v[12:13]
	v_mov_b32_e32 v14, s17
	v_add_co_u32_e32 v10, vcc, s16, v10
	v_addc_co_u32_e32 v11, vcc, v14, v11, vcc
	s_mov_b64 s[34:35], 0
                                        ; implicit-def: $sgpr30_sgpr31
                                        ; implicit-def: $sgpr38_sgpr39
                                        ; implicit-def: $sgpr36_sgpr37
	s_branch .LBB4_229
.LBB4_228:                              ;   in Loop: Header=BB4_229 Depth=1
	s_or_b64 exec, exec, s[40:41]
	s_and_b64 s[40:41], exec, s[38:39]
	s_or_b64 s[34:35], s[40:41], s[34:35]
	s_andn2_b64 s[30:31], s[30:31], exec
	s_and_b64 s[40:41], s[36:37], exec
	s_or_b64 s[30:31], s[30:31], s[40:41]
	s_andn2_b64 exec, exec, s[34:35]
	s_cbranch_execz .LBB4_259
.LBB4_229:                              ; =>This Inner Loop Header: Depth=1
	global_load_dword v18, v[10:11], off
	v_pk_mov_b32 v[14:15], v[12:13], v[12:13] op_sel:[0,1]
	s_or_b64 s[36:37], s[36:37], exec
	s_or_b64 s[38:39], s[38:39], exec
                                        ; implicit-def: $vgpr12_vgpr13
	s_waitcnt vmcnt(0)
	v_cmp_ne_u32_e32 vcc, v18, v38
	s_and_saveexec_b64 s[40:41], vcc
	s_cbranch_execz .LBB4_228
; %bb.230:                              ;   in Loop: Header=BB4_229 Depth=1
	v_add_co_u32_e32 v12, vcc, 1, v14
	v_addc_co_u32_e32 v13, vcc, 0, v15, vcc
	v_add_co_u32_e32 v10, vcc, 4, v10
	v_addc_co_u32_e32 v11, vcc, 0, v11, vcc
	v_cmp_ge_i32_e32 vcc, v12, v4
	s_andn2_b64 s[38:39], s[38:39], exec
	s_and_b64 s[42:43], vcc, exec
	s_andn2_b64 s[36:37], s[36:37], exec
	s_or_b64 s[38:39], s[38:39], s[42:43]
	s_branch .LBB4_228
.LBB4_231:
	v_cmp_eq_u32_e32 vcc, v48, v4
                                        ; implicit-def: $vgpr8_vgpr9
	s_and_saveexec_b64 s[28:29], vcc
; %bb.232:
	v_lshlrev_b64 v[8:9], 3, v[10:11]
	v_mov_b32_e32 v4, s19
	v_add_co_u32_e32 v8, vcc, s18, v8
	s_mov_b64 s[24:25], exec
	v_addc_co_u32_e32 v9, vcc, v4, v9, vcc
; %bb.233:
	s_or_b64 exec, exec, s[28:29]
	s_and_b64 s[24:25], s[24:25], exec
                                        ; implicit-def: $vgpr4
	s_andn2_saveexec_b64 s[26:27], s[26:27]
	s_cbranch_execz .LBB4_69
.LBB4_234:
	v_sub_u32_e32 v8, 0, v4
	v_mov_b32_e32 v9, 0
	v_lshlrev_b64 v[8:9], 2, v[8:9]
	v_sub_u32_e32 v10, 1, v4
	v_mov_b32_e32 v13, s7
	v_add_co_u32_e32 v8, vcc, s6, v8
	v_ashrrev_i32_e32 v11, 31, v10
	v_addc_co_u32_e32 v9, vcc, v13, v9, vcc
	v_lshlrev_b64 v[10:11], 2, v[10:11]
	v_add_co_u32_e32 v12, vcc, s6, v10
	v_addc_co_u32_e32 v13, vcc, v13, v11, vcc
	global_load_dword v10, v[8:9], off
	global_load_dword v4, v[12:13], off
	s_mov_b64 s[30:31], s[24:25]
                                        ; implicit-def: $vgpr8_vgpr9
	s_waitcnt vmcnt(0)
	v_cmp_lt_i32_e32 vcc, v10, v4
	s_and_saveexec_b64 s[28:29], vcc
	s_cbranch_execz .LBB4_266
; %bb.235:
	v_ashrrev_i32_e32 v11, 31, v10
	v_lshlrev_b64 v[8:9], 2, v[10:11]
	v_mov_b32_e32 v12, s17
	v_add_co_u32_e32 v8, vcc, s16, v8
	v_addc_co_u32_e32 v9, vcc, v12, v9, vcc
	s_mov_b64 s[34:35], 0
                                        ; implicit-def: $sgpr30_sgpr31
                                        ; implicit-def: $sgpr38_sgpr39
                                        ; implicit-def: $sgpr36_sgpr37
	s_branch .LBB4_237
.LBB4_236:                              ;   in Loop: Header=BB4_237 Depth=1
	s_or_b64 exec, exec, s[40:41]
	s_and_b64 s[40:41], exec, s[38:39]
	s_or_b64 s[34:35], s[40:41], s[34:35]
	s_andn2_b64 s[30:31], s[30:31], exec
	s_and_b64 s[40:41], s[36:37], exec
	s_or_b64 s[30:31], s[30:31], s[40:41]
	s_andn2_b64 exec, exec, s[34:35]
	s_cbranch_execz .LBB4_263
.LBB4_237:                              ; =>This Inner Loop Header: Depth=1
	global_load_dword v14, v[8:9], off
	v_pk_mov_b32 v[12:13], v[10:11], v[10:11] op_sel:[0,1]
	s_or_b64 s[36:37], s[36:37], exec
	s_or_b64 s[38:39], s[38:39], exec
                                        ; implicit-def: $vgpr10_vgpr11
	s_waitcnt vmcnt(0)
	v_cmp_ne_u32_e32 vcc, v14, v38
	s_and_saveexec_b64 s[40:41], vcc
	s_cbranch_execz .LBB4_236
; %bb.238:                              ;   in Loop: Header=BB4_237 Depth=1
	v_add_co_u32_e32 v10, vcc, 1, v12
	v_addc_co_u32_e32 v11, vcc, 0, v13, vcc
	v_add_co_u32_e32 v8, vcc, 4, v8
	v_addc_co_u32_e32 v9, vcc, 0, v9, vcc
	v_cmp_ge_i32_e32 vcc, v10, v4
	s_andn2_b64 s[38:39], s[38:39], exec
	s_and_b64 s[42:43], vcc, exec
	s_andn2_b64 s[36:37], s[36:37], exec
	s_or_b64 s[38:39], s[38:39], s[42:43]
	s_branch .LBB4_236
.LBB4_239:
	v_cmp_eq_u32_e32 vcc, v48, v4
                                        ; implicit-def: $vgpr6_vgpr7
	s_and_saveexec_b64 s[26:27], vcc
; %bb.240:
	v_mov_b32_e32 v4, s19
	v_add_co_u32_e32 v6, vcc, s18, v22
	s_mov_b64 s[0:1], exec
	v_addc_co_u32_e32 v7, vcc, v4, v23, vcc
; %bb.241:
	s_or_b64 exec, exec, s[26:27]
	s_and_b64 s[0:1], s[0:1], exec
                                        ; implicit-def: $vgpr4
	s_andn2_saveexec_b64 s[24:25], s[24:25]
	s_cbranch_execz .LBB4_74
.LBB4_242:
	v_sub_u32_e32 v6, 0, v4
	v_mov_b32_e32 v7, 0
	v_lshlrev_b64 v[6:7], 2, v[6:7]
	v_sub_u32_e32 v8, 1, v4
	v_mov_b32_e32 v11, s7
	v_add_co_u32_e32 v6, vcc, s6, v6
	v_ashrrev_i32_e32 v9, 31, v8
	v_addc_co_u32_e32 v7, vcc, v11, v7, vcc
	v_lshlrev_b64 v[8:9], 2, v[8:9]
	v_add_co_u32_e32 v10, vcc, s6, v8
	v_addc_co_u32_e32 v11, vcc, v11, v9, vcc
	global_load_dword v8, v[6:7], off
	global_load_dword v4, v[10:11], off
	s_mov_b64 s[28:29], s[0:1]
                                        ; implicit-def: $vgpr6_vgpr7
	s_waitcnt vmcnt(0)
	v_cmp_lt_i32_e32 vcc, v8, v4
	s_and_saveexec_b64 s[26:27], vcc
	s_cbranch_execz .LBB4_270
; %bb.243:
	v_ashrrev_i32_e32 v9, 31, v8
	v_lshlrev_b64 v[6:7], 2, v[8:9]
	v_mov_b32_e32 v10, s17
	v_add_co_u32_e32 v6, vcc, s16, v6
	v_addc_co_u32_e32 v7, vcc, v10, v7, vcc
	s_mov_b64 s[30:31], 0
                                        ; implicit-def: $sgpr28_sgpr29
                                        ; implicit-def: $sgpr36_sgpr37
                                        ; implicit-def: $sgpr34_sgpr35
	s_branch .LBB4_245
.LBB4_244:                              ;   in Loop: Header=BB4_245 Depth=1
	s_or_b64 exec, exec, s[38:39]
	s_and_b64 s[38:39], exec, s[36:37]
	s_or_b64 s[30:31], s[38:39], s[30:31]
	s_andn2_b64 s[28:29], s[28:29], exec
	s_and_b64 s[38:39], s[34:35], exec
	s_or_b64 s[28:29], s[28:29], s[38:39]
	s_andn2_b64 exec, exec, s[30:31]
	s_cbranch_execz .LBB4_267
.LBB4_245:                              ; =>This Inner Loop Header: Depth=1
	global_load_dword v12, v[6:7], off
	v_pk_mov_b32 v[10:11], v[8:9], v[8:9] op_sel:[0,1]
	s_or_b64 s[34:35], s[34:35], exec
	s_or_b64 s[36:37], s[36:37], exec
                                        ; implicit-def: $vgpr8_vgpr9
	s_waitcnt vmcnt(0)
	v_cmp_ne_u32_e32 vcc, v12, v38
	s_and_saveexec_b64 s[38:39], vcc
	s_cbranch_execz .LBB4_244
; %bb.246:                              ;   in Loop: Header=BB4_245 Depth=1
	v_add_co_u32_e32 v8, vcc, 1, v10
	v_addc_co_u32_e32 v9, vcc, 0, v11, vcc
	v_add_co_u32_e32 v6, vcc, 4, v6
	v_addc_co_u32_e32 v7, vcc, 0, v7, vcc
	v_cmp_ge_i32_e32 vcc, v8, v4
	s_andn2_b64 s[36:37], s[36:37], exec
	s_and_b64 s[40:41], vcc, exec
	s_andn2_b64 s[34:35], s[34:35], exec
	s_or_b64 s[36:37], s[36:37], s[40:41]
	s_branch .LBB4_244
.LBB4_247:
	v_cmp_eq_u32_e32 vcc, v48, v4
                                        ; implicit-def: $vgpr2_vgpr3
	s_and_saveexec_b64 s[24:25], vcc
; %bb.248:
	v_lshlrev_b64 v[2:3], 3, v[6:7]
	v_mov_b32_e32 v4, s19
	v_add_co_u32_e32 v2, vcc, s18, v2
	v_addc_co_u32_e32 v3, vcc, v4, v3, vcc
	v_add_co_u32_e32 v2, vcc, 8, v2
	s_mov_b64 s[2:3], exec
	v_addc_co_u32_e32 v3, vcc, 0, v3, vcc
; %bb.249:
	s_or_b64 exec, exec, s[24:25]
	s_and_b64 s[2:3], s[2:3], exec
                                        ; implicit-def: $vgpr4
                                        ; implicit-def: $vgpr38
	s_andn2_saveexec_b64 s[22:23], s[22:23]
	s_cbranch_execz .LBB4_79
.LBB4_250:
	v_sub_u32_e32 v2, 0, v4
	v_mov_b32_e32 v3, 0
	v_lshlrev_b64 v[2:3], 2, v[2:3]
	v_sub_u32_e32 v6, 1, v4
	v_mov_b32_e32 v9, s7
	v_add_co_u32_e32 v2, vcc, s6, v2
	v_ashrrev_i32_e32 v7, 31, v6
	v_addc_co_u32_e32 v3, vcc, v9, v3, vcc
	v_lshlrev_b64 v[6:7], 2, v[6:7]
	v_add_co_u32_e32 v8, vcc, s6, v6
	v_addc_co_u32_e32 v9, vcc, v9, v7, vcc
	global_load_dword v6, v[2:3], off
	global_load_dword v4, v[8:9], off
	s_mov_b64 s[26:27], s[2:3]
                                        ; implicit-def: $vgpr2_vgpr3
	s_waitcnt vmcnt(0)
	v_cmp_lt_i32_e32 vcc, v6, v4
	s_and_saveexec_b64 s[24:25], vcc
	s_cbranch_execz .LBB4_274
; %bb.251:
	v_ashrrev_i32_e32 v7, 31, v6
	v_lshlrev_b64 v[2:3], 2, v[6:7]
	v_mov_b32_e32 v8, s17
	v_add_co_u32_e32 v2, vcc, s16, v2
	v_addc_co_u32_e32 v3, vcc, v8, v3, vcc
	s_mov_b64 s[28:29], 0
                                        ; implicit-def: $sgpr26_sgpr27
                                        ; implicit-def: $sgpr34_sgpr35
                                        ; implicit-def: $sgpr30_sgpr31
	s_branch .LBB4_253
.LBB4_252:                              ;   in Loop: Header=BB4_253 Depth=1
	s_or_b64 exec, exec, s[36:37]
	s_and_b64 s[36:37], exec, s[34:35]
	s_or_b64 s[28:29], s[36:37], s[28:29]
	s_andn2_b64 s[26:27], s[26:27], exec
	s_and_b64 s[36:37], s[30:31], exec
	s_or_b64 s[26:27], s[26:27], s[36:37]
	s_andn2_b64 exec, exec, s[28:29]
	s_cbranch_execz .LBB4_271
.LBB4_253:                              ; =>This Inner Loop Header: Depth=1
	global_load_dword v10, v[2:3], off
	v_pk_mov_b32 v[8:9], v[6:7], v[6:7] op_sel:[0,1]
	s_or_b64 s[30:31], s[30:31], exec
	s_or_b64 s[34:35], s[34:35], exec
                                        ; implicit-def: $vgpr6_vgpr7
	s_waitcnt vmcnt(0)
	v_cmp_ne_u32_e32 vcc, v10, v38
	s_and_saveexec_b64 s[36:37], vcc
	s_cbranch_execz .LBB4_252
; %bb.254:                              ;   in Loop: Header=BB4_253 Depth=1
	v_add_co_u32_e32 v6, vcc, 1, v8
	v_addc_co_u32_e32 v7, vcc, 0, v9, vcc
	v_add_co_u32_e32 v2, vcc, 4, v2
	v_addc_co_u32_e32 v3, vcc, 0, v3, vcc
	v_cmp_ge_i32_e32 vcc, v6, v4
	s_andn2_b64 s[34:35], s[34:35], exec
	s_and_b64 s[38:39], vcc, exec
	s_andn2_b64 s[30:31], s[30:31], exec
	s_or_b64 s[34:35], s[34:35], s[38:39]
	s_branch .LBB4_252
.LBB4_255:
	s_or_b64 exec, exec, s[34:35]
	s_mov_b64 s[34:35], s[24:25]
                                        ; implicit-def: $vgpr14_vgpr15
	s_and_saveexec_b64 s[36:37], s[30:31]
	s_xor_b64 s[30:31], exec, s[36:37]
; %bb.256:
	v_lshlrev_b64 v[14:15], 3, v[20:21]
	v_mov_b32_e32 v4, s21
	v_add_co_u32_e32 v14, vcc, s20, v14
	v_addc_co_u32_e32 v15, vcc, v4, v15, vcc
	s_or_b64 s[34:35], s[24:25], exec
; %bb.257:
	s_or_b64 exec, exec, s[30:31]
	s_andn2_b64 s[30:31], s[24:25], exec
	s_and_b64 s[34:35], s[34:35], exec
	s_or_b64 s[30:31], s[30:31], s[34:35]
.LBB4_258:
	s_or_b64 exec, exec, s[28:29]
	s_andn2_b64 s[24:25], s[24:25], exec
	s_and_b64 s[28:29], s[30:31], exec
	s_or_b64 s[24:25], s[24:25], s[28:29]
	s_or_b64 exec, exec, s[26:27]
	s_and_saveexec_b64 s[26:27], s[24:25]
	s_cbranch_execnz .LBB4_54
	s_branch .LBB4_55
.LBB4_259:
	s_or_b64 exec, exec, s[34:35]
	s_mov_b64 s[34:35], s[24:25]
                                        ; implicit-def: $vgpr10_vgpr11
	s_and_saveexec_b64 s[36:37], s[30:31]
	s_xor_b64 s[30:31], exec, s[36:37]
; %bb.260:
	v_lshlrev_b64 v[10:11], 3, v[14:15]
	v_mov_b32_e32 v4, s21
	v_add_co_u32_e32 v10, vcc, s20, v10
	v_addc_co_u32_e32 v11, vcc, v4, v11, vcc
	s_or_b64 s[34:35], s[24:25], exec
; %bb.261:
	s_or_b64 exec, exec, s[30:31]
	s_andn2_b64 s[30:31], s[24:25], exec
	s_and_b64 s[34:35], s[34:35], exec
	s_or_b64 s[30:31], s[30:31], s[34:35]
.LBB4_262:
	s_or_b64 exec, exec, s[28:29]
	s_andn2_b64 s[24:25], s[24:25], exec
	s_and_b64 s[28:29], s[30:31], exec
	s_or_b64 s[24:25], s[24:25], s[28:29]
	s_or_b64 exec, exec, s[26:27]
	s_and_saveexec_b64 s[26:27], s[24:25]
	s_cbranch_execnz .LBB4_60
	s_branch .LBB4_61
.LBB4_263:
	s_or_b64 exec, exec, s[34:35]
	s_mov_b64 s[34:35], s[24:25]
                                        ; implicit-def: $vgpr8_vgpr9
	s_and_saveexec_b64 s[36:37], s[30:31]
	s_xor_b64 s[30:31], exec, s[36:37]
; %bb.264:
	v_lshlrev_b64 v[8:9], 3, v[12:13]
	v_mov_b32_e32 v4, s21
	v_add_co_u32_e32 v8, vcc, s20, v8
	v_addc_co_u32_e32 v9, vcc, v4, v9, vcc
	s_or_b64 s[34:35], s[24:25], exec
; %bb.265:
	s_or_b64 exec, exec, s[30:31]
	s_andn2_b64 s[30:31], s[24:25], exec
	s_and_b64 s[34:35], s[34:35], exec
	s_or_b64 s[30:31], s[30:31], s[34:35]
.LBB4_266:
	s_or_b64 exec, exec, s[28:29]
	s_andn2_b64 s[24:25], s[24:25], exec
	s_and_b64 s[28:29], s[30:31], exec
	s_or_b64 s[24:25], s[24:25], s[28:29]
	s_or_b64 exec, exec, s[26:27]
	s_and_saveexec_b64 s[26:27], s[24:25]
	s_cbranch_execnz .LBB4_70
	s_branch .LBB4_71
.LBB4_267:
	s_or_b64 exec, exec, s[30:31]
	s_mov_b64 s[30:31], s[0:1]
                                        ; implicit-def: $vgpr6_vgpr7
	s_and_saveexec_b64 s[34:35], s[28:29]
	s_xor_b64 s[28:29], exec, s[34:35]
; %bb.268:
	v_lshlrev_b64 v[6:7], 3, v[10:11]
	v_mov_b32_e32 v4, s21
	v_add_co_u32_e32 v6, vcc, s20, v6
	v_addc_co_u32_e32 v7, vcc, v4, v7, vcc
	s_or_b64 s[30:31], s[0:1], exec
; %bb.269:
	s_or_b64 exec, exec, s[28:29]
	s_andn2_b64 s[28:29], s[0:1], exec
	s_and_b64 s[30:31], s[30:31], exec
	s_or_b64 s[28:29], s[28:29], s[30:31]
.LBB4_270:
	s_or_b64 exec, exec, s[26:27]
	s_andn2_b64 s[0:1], s[0:1], exec
	s_and_b64 s[26:27], s[28:29], exec
	s_or_b64 s[0:1], s[0:1], s[26:27]
	s_or_b64 exec, exec, s[24:25]
	s_and_saveexec_b64 s[24:25], s[0:1]
	s_cbranch_execnz .LBB4_75
	s_branch .LBB4_76
.LBB4_271:
	s_or_b64 exec, exec, s[28:29]
	s_mov_b64 s[28:29], s[2:3]
                                        ; implicit-def: $vgpr2_vgpr3
	s_and_saveexec_b64 s[30:31], s[26:27]
	s_xor_b64 s[26:27], exec, s[30:31]
; %bb.272:
	v_lshlrev_b64 v[2:3], 3, v[8:9]
	v_mov_b32_e32 v4, s21
	v_add_co_u32_e32 v2, vcc, s20, v2
	v_addc_co_u32_e32 v3, vcc, v4, v3, vcc
	s_or_b64 s[28:29], s[2:3], exec
; %bb.273:
	s_or_b64 exec, exec, s[26:27]
	s_andn2_b64 s[26:27], s[2:3], exec
	s_and_b64 s[28:29], s[28:29], exec
	s_or_b64 s[26:27], s[26:27], s[28:29]
.LBB4_274:
	s_or_b64 exec, exec, s[24:25]
	s_andn2_b64 s[2:3], s[2:3], exec
	s_and_b64 s[24:25], s[26:27], exec
	s_or_b64 s[2:3], s[2:3], s[24:25]
	s_or_b64 exec, exec, s[22:23]
	s_and_saveexec_b64 s[22:23], s[2:3]
	s_cbranch_execnz .LBB4_80
	s_branch .LBB4_81
	.section	.rodata,"a",@progbits
	.p2align	6, 0x0
	.amdhsa_kernel _Z9ccc_loop3PKiS0_S0_PKdS2_PdS3_S2_S2_iiPi
		.amdhsa_group_segment_fixed_size 0
		.amdhsa_private_segment_fixed_size 0
		.amdhsa_kernarg_size 344
		.amdhsa_user_sgpr_count 6
		.amdhsa_user_sgpr_private_segment_buffer 1
		.amdhsa_user_sgpr_dispatch_ptr 0
		.amdhsa_user_sgpr_queue_ptr 0
		.amdhsa_user_sgpr_kernarg_segment_ptr 1
		.amdhsa_user_sgpr_dispatch_id 0
		.amdhsa_user_sgpr_flat_scratch_init 0
		.amdhsa_user_sgpr_kernarg_preload_length 0
		.amdhsa_user_sgpr_kernarg_preload_offset 0
		.amdhsa_user_sgpr_private_segment_size 0
		.amdhsa_uses_dynamic_stack 0
		.amdhsa_system_sgpr_private_segment_wavefront_offset 0
		.amdhsa_system_sgpr_workgroup_id_x 1
		.amdhsa_system_sgpr_workgroup_id_y 1
		.amdhsa_system_sgpr_workgroup_id_z 0
		.amdhsa_system_sgpr_workgroup_info 0
		.amdhsa_system_vgpr_workitem_id 1
		.amdhsa_next_free_vgpr 96
		.amdhsa_next_free_sgpr 46
		.amdhsa_accum_offset 96
		.amdhsa_reserve_vcc 1
		.amdhsa_reserve_flat_scratch 0
		.amdhsa_float_round_mode_32 0
		.amdhsa_float_round_mode_16_64 0
		.amdhsa_float_denorm_mode_32 3
		.amdhsa_float_denorm_mode_16_64 3
		.amdhsa_dx10_clamp 1
		.amdhsa_ieee_mode 1
		.amdhsa_fp16_overflow 0
		.amdhsa_tg_split 0
		.amdhsa_exception_fp_ieee_invalid_op 0
		.amdhsa_exception_fp_denorm_src 0
		.amdhsa_exception_fp_ieee_div_zero 0
		.amdhsa_exception_fp_ieee_overflow 0
		.amdhsa_exception_fp_ieee_underflow 0
		.amdhsa_exception_fp_ieee_inexact 0
		.amdhsa_exception_int_div_zero 0
	.end_amdhsa_kernel
	.text
.Lfunc_end4:
	.size	_Z9ccc_loop3PKiS0_S0_PKdS2_PdS3_S2_S2_iiPi, .Lfunc_end4-_Z9ccc_loop3PKiS0_S0_PKdS2_PdS3_S2_S2_iiPi
                                        ; -- End function
	.section	.AMDGPU.csdata,"",@progbits
; Kernel info:
; codeLenInByte = 10636
; NumSgprs: 50
; NumVgprs: 96
; NumAgprs: 0
; TotalNumVgprs: 96
; ScratchSize: 0
; MemoryBound: 0
; FloatMode: 240
; IeeeMode: 1
; LDSByteSize: 0 bytes/workgroup (compile time only)
; SGPRBlocks: 6
; VGPRBlocks: 11
; NumSGPRsForWavesPerEU: 50
; NumVGPRsForWavesPerEU: 96
; AccumOffset: 96
; Occupancy: 5
; WaveLimiterHint : 1
; COMPUTE_PGM_RSRC2:SCRATCH_EN: 0
; COMPUTE_PGM_RSRC2:USER_SGPR: 6
; COMPUTE_PGM_RSRC2:TRAP_HANDLER: 0
; COMPUTE_PGM_RSRC2:TGID_X_EN: 1
; COMPUTE_PGM_RSRC2:TGID_Y_EN: 1
; COMPUTE_PGM_RSRC2:TGID_Z_EN: 0
; COMPUTE_PGM_RSRC2:TIDIG_COMP_CNT: 1
; COMPUTE_PGM_RSRC3_GFX90A:ACCUM_OFFSET: 23
; COMPUTE_PGM_RSRC3_GFX90A:TG_SPLIT: 0
	.text
	.p2alignl 6, 3212836864
	.fill 256, 4, 3212836864
	.type	__hip_cuid_4f85a45bd925082b,@object ; @__hip_cuid_4f85a45bd925082b
	.section	.bss,"aw",@nobits
	.globl	__hip_cuid_4f85a45bd925082b
__hip_cuid_4f85a45bd925082b:
	.byte	0                               ; 0x0
	.size	__hip_cuid_4f85a45bd925082b, 1

	.ident	"AMD clang version 19.0.0git (https://github.com/RadeonOpenCompute/llvm-project roc-6.4.0 25133 c7fe45cf4b819c5991fe208aaa96edf142730f1d)"
	.section	".note.GNU-stack","",@progbits
	.addrsig
	.addrsig_sym __hip_cuid_4f85a45bd925082b
	.amdgpu_metadata
---
amdhsa.kernels:
  - .agpr_count:     0
    .args:
      - .actual_access:  read_only
        .address_space:  global
        .offset:         0
        .size:           8
        .value_kind:     global_buffer
      - .actual_access:  read_only
        .address_space:  global
        .offset:         8
        .size:           8
        .value_kind:     global_buffer
      - .actual_access:  read_only
        .address_space:  global
        .offset:         16
        .size:           8
        .value_kind:     global_buffer
      - .actual_access:  read_only
        .address_space:  global
        .offset:         24
        .size:           8
        .value_kind:     global_buffer
      - .actual_access:  read_only
        .address_space:  global
        .offset:         32
        .size:           8
        .value_kind:     global_buffer
      - .actual_access:  read_only
        .address_space:  global
        .offset:         40
        .size:           8
        .value_kind:     global_buffer
      - .actual_access:  write_only
        .address_space:  global
        .offset:         48
        .size:           8
        .value_kind:     global_buffer
      - .offset:         56
        .size:           4
        .value_kind:     by_value
      - .offset:         60
        .size:           4
        .value_kind:     by_value
      - .actual_access:  read_only
        .address_space:  global
        .offset:         64
        .size:           8
        .value_kind:     global_buffer
      - .offset:         72
        .size:           4
        .value_kind:     hidden_block_count_x
      - .offset:         76
        .size:           4
        .value_kind:     hidden_block_count_y
      - .offset:         80
        .size:           4
        .value_kind:     hidden_block_count_z
      - .offset:         84
        .size:           2
        .value_kind:     hidden_group_size_x
      - .offset:         86
        .size:           2
        .value_kind:     hidden_group_size_y
      - .offset:         88
        .size:           2
        .value_kind:     hidden_group_size_z
      - .offset:         90
        .size:           2
        .value_kind:     hidden_remainder_x
      - .offset:         92
        .size:           2
        .value_kind:     hidden_remainder_y
      - .offset:         94
        .size:           2
        .value_kind:     hidden_remainder_z
      - .offset:         112
        .size:           8
        .value_kind:     hidden_global_offset_x
      - .offset:         120
        .size:           8
        .value_kind:     hidden_global_offset_y
      - .offset:         128
        .size:           8
        .value_kind:     hidden_global_offset_z
      - .offset:         136
        .size:           2
        .value_kind:     hidden_grid_dims
    .group_segment_fixed_size: 0
    .kernarg_segment_align: 8
    .kernarg_segment_size: 328
    .language:       OpenCL C
    .language_version:
      - 2
      - 0
    .max_flat_workgroup_size: 1024
    .name:           _Z9ccc_loop1PKiS0_PKdS2_S2_S2_PdiiPi
    .private_segment_fixed_size: 0
    .sgpr_count:     14
    .sgpr_spill_count: 0
    .symbol:         _Z9ccc_loop1PKiS0_PKdS2_S2_S2_PdiiPi.kd
    .uniform_work_group_size: 1
    .uses_dynamic_stack: false
    .vgpr_count:     15
    .vgpr_spill_count: 0
    .wavefront_size: 64
  - .agpr_count:     0
    .args:
      - .actual_access:  read_only
        .address_space:  global
        .offset:         0
        .size:           8
        .value_kind:     global_buffer
      - .actual_access:  read_only
        .address_space:  global
        .offset:         8
        .size:           8
        .value_kind:     global_buffer
      - .actual_access:  read_only
        .address_space:  global
        .offset:         16
        .size:           8
        .value_kind:     global_buffer
      - .actual_access:  write_only
        .address_space:  global
        .offset:         24
        .size:           8
        .value_kind:     global_buffer
      - .actual_access:  read_only
        .address_space:  global
        .offset:         32
        .size:           8
        .value_kind:     global_buffer
      - .offset:         40
        .size:           4
        .value_kind:     by_value
      - .actual_access:  read_only
        .address_space:  global
        .offset:         48
        .size:           8
        .value_kind:     global_buffer
      - .actual_access:  read_only
        .address_space:  global
        .offset:         56
        .size:           8
        .value_kind:     global_buffer
      - .offset:         64
        .size:           4
        .value_kind:     by_value
      - .offset:         68
        .size:           4
        .value_kind:     by_value
      - .offset:         72
        .size:           4
        .value_kind:     hidden_block_count_x
      - .offset:         76
        .size:           4
        .value_kind:     hidden_block_count_y
      - .offset:         80
        .size:           4
        .value_kind:     hidden_block_count_z
      - .offset:         84
        .size:           2
        .value_kind:     hidden_group_size_x
      - .offset:         86
        .size:           2
        .value_kind:     hidden_group_size_y
      - .offset:         88
        .size:           2
        .value_kind:     hidden_group_size_z
      - .offset:         90
        .size:           2
        .value_kind:     hidden_remainder_x
      - .offset:         92
        .size:           2
        .value_kind:     hidden_remainder_y
      - .offset:         94
        .size:           2
        .value_kind:     hidden_remainder_z
      - .offset:         112
        .size:           8
        .value_kind:     hidden_global_offset_x
      - .offset:         120
        .size:           8
        .value_kind:     hidden_global_offset_y
      - .offset:         128
        .size:           8
        .value_kind:     hidden_global_offset_z
      - .offset:         136
        .size:           2
        .value_kind:     hidden_grid_dims
    .group_segment_fixed_size: 0
    .kernarg_segment_align: 8
    .kernarg_segment_size: 328
    .language:       OpenCL C
    .language_version:
      - 2
      - 0
    .max_flat_workgroup_size: 1024
    .name:           _Z11ccc_loop1_2PKdS0_S0_PdPKiiS3_S3_ii
    .private_segment_fixed_size: 0
    .sgpr_count:     20
    .sgpr_spill_count: 0
    .symbol:         _Z11ccc_loop1_2PKdS0_S0_PdPKiiS3_S3_ii.kd
    .uniform_work_group_size: 1
    .uses_dynamic_stack: false
    .vgpr_count:     15
    .vgpr_spill_count: 0
    .wavefront_size: 64
  - .agpr_count:     0
    .args:
      - .actual_access:  read_only
        .address_space:  global
        .offset:         0
        .size:           8
        .value_kind:     global_buffer
      - .actual_access:  read_only
        .address_space:  global
        .offset:         8
        .size:           8
        .value_kind:     global_buffer
      - .actual_access:  read_only
        .address_space:  global
        .offset:         16
        .size:           8
        .value_kind:     global_buffer
      - .actual_access:  read_only
        .address_space:  global
        .offset:         24
        .size:           8
        .value_kind:     global_buffer
      - .actual_access:  read_only
        .address_space:  global
        .offset:         32
        .size:           8
        .value_kind:     global_buffer
      - .actual_access:  read_only
        .address_space:  global
        .offset:         40
        .size:           8
        .value_kind:     global_buffer
      - .actual_access:  read_only
        .address_space:  global
        .offset:         48
        .size:           8
        .value_kind:     global_buffer
      - .actual_access:  read_only
        .address_space:  global
        .offset:         56
        .size:           8
        .value_kind:     global_buffer
      - .actual_access:  read_only
        .address_space:  global
        .offset:         64
        .size:           8
        .value_kind:     global_buffer
      - .actual_access:  write_only
        .address_space:  global
        .offset:         72
        .size:           8
        .value_kind:     global_buffer
      - .actual_access:  read_only
        .address_space:  global
        .offset:         80
        .size:           8
        .value_kind:     global_buffer
      - .offset:         88
        .size:           4
        .value_kind:     by_value
      - .offset:         92
        .size:           4
        .value_kind:     by_value
      - .actual_access:  read_only
        .address_space:  global
        .offset:         96
        .size:           8
        .value_kind:     global_buffer
      - .offset:         104
        .size:           4
        .value_kind:     hidden_block_count_x
      - .offset:         108
        .size:           4
        .value_kind:     hidden_block_count_y
      - .offset:         112
        .size:           4
        .value_kind:     hidden_block_count_z
      - .offset:         116
        .size:           2
        .value_kind:     hidden_group_size_x
      - .offset:         118
        .size:           2
        .value_kind:     hidden_group_size_y
      - .offset:         120
        .size:           2
        .value_kind:     hidden_group_size_z
      - .offset:         122
        .size:           2
        .value_kind:     hidden_remainder_x
      - .offset:         124
        .size:           2
        .value_kind:     hidden_remainder_y
      - .offset:         126
        .size:           2
        .value_kind:     hidden_remainder_z
      - .offset:         144
        .size:           8
        .value_kind:     hidden_global_offset_x
      - .offset:         152
        .size:           8
        .value_kind:     hidden_global_offset_y
      - .offset:         160
        .size:           8
        .value_kind:     hidden_global_offset_z
      - .offset:         168
        .size:           2
        .value_kind:     hidden_grid_dims
    .group_segment_fixed_size: 0
    .kernarg_segment_align: 8
    .kernarg_segment_size: 360
    .language:       OpenCL C
    .language_version:
      - 2
      - 0
    .max_flat_workgroup_size: 1024
    .name:           _Z9ccc_loop2PKiS0_S0_PKdS2_S2_S2_S2_S2_PdS3_iiPi
    .private_segment_fixed_size: 0
    .sgpr_count:     14
    .sgpr_spill_count: 0
    .symbol:         _Z9ccc_loop2PKiS0_S0_PKdS2_S2_S2_S2_S2_PdS3_iiPi.kd
    .uniform_work_group_size: 1
    .uses_dynamic_stack: false
    .vgpr_count:     9
    .vgpr_spill_count: 0
    .wavefront_size: 64
  - .agpr_count:     0
    .args:
      - .actual_access:  read_only
        .address_space:  global
        .offset:         0
        .size:           8
        .value_kind:     global_buffer
      - .actual_access:  read_only
        .address_space:  global
        .offset:         8
        .size:           8
        .value_kind:     global_buffer
      - .actual_access:  read_only
        .address_space:  global
        .offset:         16
        .size:           8
        .value_kind:     global_buffer
      - .actual_access:  read_only
        .address_space:  global
        .offset:         24
        .size:           8
        .value_kind:     global_buffer
      - .actual_access:  read_only
        .address_space:  global
        .offset:         32
        .size:           8
        .value_kind:     global_buffer
      - .actual_access:  write_only
        .address_space:  global
        .offset:         40
        .size:           8
        .value_kind:     global_buffer
      - .actual_access:  read_only
        .address_space:  global
        .offset:         48
        .size:           8
        .value_kind:     global_buffer
      - .offset:         56
        .size:           4
        .value_kind:     by_value
      - .offset:         64
        .size:           4
        .value_kind:     hidden_block_count_x
      - .offset:         68
        .size:           4
        .value_kind:     hidden_block_count_y
      - .offset:         72
        .size:           4
        .value_kind:     hidden_block_count_z
      - .offset:         76
        .size:           2
        .value_kind:     hidden_group_size_x
      - .offset:         78
        .size:           2
        .value_kind:     hidden_group_size_y
      - .offset:         80
        .size:           2
        .value_kind:     hidden_group_size_z
      - .offset:         82
        .size:           2
        .value_kind:     hidden_remainder_x
      - .offset:         84
        .size:           2
        .value_kind:     hidden_remainder_y
      - .offset:         86
        .size:           2
        .value_kind:     hidden_remainder_z
      - .offset:         104
        .size:           8
        .value_kind:     hidden_global_offset_x
      - .offset:         112
        .size:           8
        .value_kind:     hidden_global_offset_y
      - .offset:         120
        .size:           8
        .value_kind:     hidden_global_offset_z
      - .offset:         128
        .size:           2
        .value_kind:     hidden_grid_dims
    .group_segment_fixed_size: 0
    .kernarg_segment_align: 8
    .kernarg_segment_size: 320
    .language:       OpenCL C
    .language_version:
      - 2
      - 0
    .max_flat_workgroup_size: 1024
    .name:           _Z11ccc_loop2_2PKiPKdS2_S2_S2_PdPii
    .private_segment_fixed_size: 0
    .sgpr_count:     20
    .sgpr_spill_count: 0
    .symbol:         _Z11ccc_loop2_2PKiPKdS2_S2_S2_PdPii.kd
    .uniform_work_group_size: 1
    .uses_dynamic_stack: false
    .vgpr_count:     15
    .vgpr_spill_count: 0
    .wavefront_size: 64
  - .agpr_count:     0
    .args:
      - .actual_access:  read_only
        .address_space:  global
        .offset:         0
        .size:           8
        .value_kind:     global_buffer
      - .actual_access:  read_only
        .address_space:  global
        .offset:         8
        .size:           8
        .value_kind:     global_buffer
      - .actual_access:  read_only
        .address_space:  global
        .offset:         16
        .size:           8
        .value_kind:     global_buffer
      - .actual_access:  read_only
        .address_space:  global
        .offset:         24
        .size:           8
        .value_kind:     global_buffer
      - .actual_access:  read_only
        .address_space:  global
        .offset:         32
        .size:           8
        .value_kind:     global_buffer
      - .actual_access:  write_only
        .address_space:  global
        .offset:         40
        .size:           8
        .value_kind:     global_buffer
      - .actual_access:  write_only
        .address_space:  global
        .offset:         48
        .size:           8
        .value_kind:     global_buffer
      - .actual_access:  read_only
        .address_space:  global
        .offset:         56
        .size:           8
        .value_kind:     global_buffer
      - .actual_access:  read_only
        .address_space:  global
        .offset:         64
        .size:           8
        .value_kind:     global_buffer
      - .offset:         72
        .size:           4
        .value_kind:     by_value
      - .offset:         76
        .size:           4
        .value_kind:     by_value
      - .actual_access:  read_only
        .address_space:  global
        .offset:         80
        .size:           8
        .value_kind:     global_buffer
      - .offset:         88
        .size:           4
        .value_kind:     hidden_block_count_x
      - .offset:         92
        .size:           4
        .value_kind:     hidden_block_count_y
      - .offset:         96
        .size:           4
        .value_kind:     hidden_block_count_z
      - .offset:         100
        .size:           2
        .value_kind:     hidden_group_size_x
      - .offset:         102
        .size:           2
        .value_kind:     hidden_group_size_y
      - .offset:         104
        .size:           2
        .value_kind:     hidden_group_size_z
      - .offset:         106
        .size:           2
        .value_kind:     hidden_remainder_x
      - .offset:         108
        .size:           2
        .value_kind:     hidden_remainder_y
      - .offset:         110
        .size:           2
        .value_kind:     hidden_remainder_z
      - .offset:         128
        .size:           8
        .value_kind:     hidden_global_offset_x
      - .offset:         136
        .size:           8
        .value_kind:     hidden_global_offset_y
      - .offset:         144
        .size:           8
        .value_kind:     hidden_global_offset_z
      - .offset:         152
        .size:           2
        .value_kind:     hidden_grid_dims
    .group_segment_fixed_size: 0
    .kernarg_segment_align: 8
    .kernarg_segment_size: 344
    .language:       OpenCL C
    .language_version:
      - 2
      - 0
    .max_flat_workgroup_size: 1024
    .name:           _Z9ccc_loop3PKiS0_S0_PKdS2_PdS3_S2_S2_iiPi
    .private_segment_fixed_size: 0
    .sgpr_count:     50
    .sgpr_spill_count: 0
    .symbol:         _Z9ccc_loop3PKiS0_S0_PKdS2_PdS3_S2_S2_iiPi.kd
    .uniform_work_group_size: 1
    .uses_dynamic_stack: false
    .vgpr_count:     96
    .vgpr_spill_count: 0
    .wavefront_size: 64
amdhsa.target:   amdgcn-amd-amdhsa--gfx90a
amdhsa.version:
  - 1
  - 2
...

	.end_amdgpu_metadata
